;; amdgpu-corpus repo=ROCm/rocFFT kind=compiled arch=gfx1100 opt=O3
	.text
	.amdgcn_target "amdgcn-amd-amdhsa--gfx1100"
	.amdhsa_code_object_version 6
	.protected	fft_rtc_back_len3750_factors_3_5_5_10_5_wgs_125_tpt_125_halfLds_sp_ip_CI_unitstride_sbrr_dirReg ; -- Begin function fft_rtc_back_len3750_factors_3_5_5_10_5_wgs_125_tpt_125_halfLds_sp_ip_CI_unitstride_sbrr_dirReg
	.globl	fft_rtc_back_len3750_factors_3_5_5_10_5_wgs_125_tpt_125_halfLds_sp_ip_CI_unitstride_sbrr_dirReg
	.p2align	8
	.type	fft_rtc_back_len3750_factors_3_5_5_10_5_wgs_125_tpt_125_halfLds_sp_ip_CI_unitstride_sbrr_dirReg,@function
fft_rtc_back_len3750_factors_3_5_5_10_5_wgs_125_tpt_125_halfLds_sp_ip_CI_unitstride_sbrr_dirReg: ; @fft_rtc_back_len3750_factors_3_5_5_10_5_wgs_125_tpt_125_halfLds_sp_ip_CI_unitstride_sbrr_dirReg
; %bb.0:
	s_clause 0x2
	s_load_b128 s[4:7], s[0:1], 0x0
	s_load_b64 s[8:9], s[0:1], 0x50
	s_load_b64 s[10:11], s[0:1], 0x18
	v_mul_u32_u24_e32 v1, 0x20d, v0
	v_mov_b32_e32 v3, 0
	v_mov_b32_e32 v4, 0
	s_delay_alu instid0(VALU_DEP_3) | instskip(SKIP_1) | instid1(VALU_DEP_1)
	v_lshrrev_b32_e32 v2, 16, v1
	v_mov_b32_e32 v1, 0
	v_dual_mov_b32 v6, v1 :: v_dual_add_nc_u32 v5, s15, v2
	s_waitcnt lgkmcnt(0)
	v_cmp_lt_u64_e64 s2, s[6:7], 2
	s_delay_alu instid0(VALU_DEP_1)
	s_and_b32 vcc_lo, exec_lo, s2
	s_cbranch_vccnz .LBB0_8
; %bb.1:
	s_load_b64 s[2:3], s[0:1], 0x10
	v_mov_b32_e32 v3, 0
	s_add_u32 s12, s10, 8
	v_mov_b32_e32 v4, 0
	s_addc_u32 s13, s11, 0
	s_mov_b64 s[16:17], 1
	s_waitcnt lgkmcnt(0)
	s_add_u32 s14, s2, 8
	s_addc_u32 s15, s3, 0
.LBB0_2:                                ; =>This Inner Loop Header: Depth=1
	s_load_b64 s[18:19], s[14:15], 0x0
                                        ; implicit-def: $vgpr7_vgpr8
	s_mov_b32 s2, exec_lo
	s_waitcnt lgkmcnt(0)
	v_or_b32_e32 v2, s19, v6
	s_delay_alu instid0(VALU_DEP_1)
	v_cmpx_ne_u64_e32 0, v[1:2]
	s_xor_b32 s3, exec_lo, s2
	s_cbranch_execz .LBB0_4
; %bb.3:                                ;   in Loop: Header=BB0_2 Depth=1
	v_cvt_f32_u32_e32 v2, s18
	v_cvt_f32_u32_e32 v7, s19
	s_sub_u32 s2, 0, s18
	s_subb_u32 s20, 0, s19
	s_delay_alu instid0(VALU_DEP_1) | instskip(NEXT) | instid1(VALU_DEP_1)
	v_fmac_f32_e32 v2, 0x4f800000, v7
	v_rcp_f32_e32 v2, v2
	s_waitcnt_depctr 0xfff
	v_mul_f32_e32 v2, 0x5f7ffffc, v2
	s_delay_alu instid0(VALU_DEP_1) | instskip(NEXT) | instid1(VALU_DEP_1)
	v_mul_f32_e32 v7, 0x2f800000, v2
	v_trunc_f32_e32 v7, v7
	s_delay_alu instid0(VALU_DEP_1) | instskip(SKIP_1) | instid1(VALU_DEP_2)
	v_fmac_f32_e32 v2, 0xcf800000, v7
	v_cvt_u32_f32_e32 v7, v7
	v_cvt_u32_f32_e32 v2, v2
	s_delay_alu instid0(VALU_DEP_2) | instskip(NEXT) | instid1(VALU_DEP_2)
	v_mul_lo_u32 v8, s2, v7
	v_mul_hi_u32 v9, s2, v2
	v_mul_lo_u32 v10, s20, v2
	s_delay_alu instid0(VALU_DEP_2) | instskip(SKIP_1) | instid1(VALU_DEP_2)
	v_add_nc_u32_e32 v8, v9, v8
	v_mul_lo_u32 v9, s2, v2
	v_add_nc_u32_e32 v8, v8, v10
	s_delay_alu instid0(VALU_DEP_2) | instskip(NEXT) | instid1(VALU_DEP_2)
	v_mul_hi_u32 v10, v2, v9
	v_mul_lo_u32 v11, v2, v8
	v_mul_hi_u32 v12, v2, v8
	v_mul_hi_u32 v13, v7, v9
	v_mul_lo_u32 v9, v7, v9
	v_mul_hi_u32 v14, v7, v8
	v_mul_lo_u32 v8, v7, v8
	v_add_co_u32 v10, vcc_lo, v10, v11
	v_add_co_ci_u32_e32 v11, vcc_lo, 0, v12, vcc_lo
	s_delay_alu instid0(VALU_DEP_2) | instskip(NEXT) | instid1(VALU_DEP_2)
	v_add_co_u32 v9, vcc_lo, v10, v9
	v_add_co_ci_u32_e32 v9, vcc_lo, v11, v13, vcc_lo
	v_add_co_ci_u32_e32 v10, vcc_lo, 0, v14, vcc_lo
	s_delay_alu instid0(VALU_DEP_2) | instskip(NEXT) | instid1(VALU_DEP_2)
	v_add_co_u32 v8, vcc_lo, v9, v8
	v_add_co_ci_u32_e32 v9, vcc_lo, 0, v10, vcc_lo
	s_delay_alu instid0(VALU_DEP_2) | instskip(NEXT) | instid1(VALU_DEP_2)
	v_add_co_u32 v2, vcc_lo, v2, v8
	v_add_co_ci_u32_e32 v7, vcc_lo, v7, v9, vcc_lo
	s_delay_alu instid0(VALU_DEP_2) | instskip(SKIP_1) | instid1(VALU_DEP_3)
	v_mul_hi_u32 v8, s2, v2
	v_mul_lo_u32 v10, s20, v2
	v_mul_lo_u32 v9, s2, v7
	s_delay_alu instid0(VALU_DEP_1) | instskip(SKIP_1) | instid1(VALU_DEP_2)
	v_add_nc_u32_e32 v8, v8, v9
	v_mul_lo_u32 v9, s2, v2
	v_add_nc_u32_e32 v8, v8, v10
	s_delay_alu instid0(VALU_DEP_2) | instskip(NEXT) | instid1(VALU_DEP_2)
	v_mul_hi_u32 v10, v2, v9
	v_mul_lo_u32 v11, v2, v8
	v_mul_hi_u32 v12, v2, v8
	v_mul_hi_u32 v13, v7, v9
	v_mul_lo_u32 v9, v7, v9
	v_mul_hi_u32 v14, v7, v8
	v_mul_lo_u32 v8, v7, v8
	v_add_co_u32 v10, vcc_lo, v10, v11
	v_add_co_ci_u32_e32 v11, vcc_lo, 0, v12, vcc_lo
	s_delay_alu instid0(VALU_DEP_2) | instskip(NEXT) | instid1(VALU_DEP_2)
	v_add_co_u32 v9, vcc_lo, v10, v9
	v_add_co_ci_u32_e32 v9, vcc_lo, v11, v13, vcc_lo
	v_add_co_ci_u32_e32 v10, vcc_lo, 0, v14, vcc_lo
	s_delay_alu instid0(VALU_DEP_2) | instskip(NEXT) | instid1(VALU_DEP_2)
	v_add_co_u32 v8, vcc_lo, v9, v8
	v_add_co_ci_u32_e32 v9, vcc_lo, 0, v10, vcc_lo
	s_delay_alu instid0(VALU_DEP_2) | instskip(NEXT) | instid1(VALU_DEP_2)
	v_add_co_u32 v2, vcc_lo, v2, v8
	v_add_co_ci_u32_e32 v13, vcc_lo, v7, v9, vcc_lo
	s_delay_alu instid0(VALU_DEP_2) | instskip(SKIP_1) | instid1(VALU_DEP_3)
	v_mul_hi_u32 v14, v5, v2
	v_mad_u64_u32 v[9:10], null, v6, v2, 0
	v_mad_u64_u32 v[7:8], null, v5, v13, 0
	;; [unrolled: 1-line block ×3, first 2 shown]
	s_delay_alu instid0(VALU_DEP_2) | instskip(NEXT) | instid1(VALU_DEP_3)
	v_add_co_u32 v2, vcc_lo, v14, v7
	v_add_co_ci_u32_e32 v7, vcc_lo, 0, v8, vcc_lo
	s_delay_alu instid0(VALU_DEP_2) | instskip(NEXT) | instid1(VALU_DEP_2)
	v_add_co_u32 v2, vcc_lo, v2, v9
	v_add_co_ci_u32_e32 v2, vcc_lo, v7, v10, vcc_lo
	v_add_co_ci_u32_e32 v7, vcc_lo, 0, v12, vcc_lo
	s_delay_alu instid0(VALU_DEP_2) | instskip(NEXT) | instid1(VALU_DEP_2)
	v_add_co_u32 v2, vcc_lo, v2, v11
	v_add_co_ci_u32_e32 v9, vcc_lo, 0, v7, vcc_lo
	s_delay_alu instid0(VALU_DEP_2) | instskip(SKIP_1) | instid1(VALU_DEP_3)
	v_mul_lo_u32 v10, s19, v2
	v_mad_u64_u32 v[7:8], null, s18, v2, 0
	v_mul_lo_u32 v11, s18, v9
	s_delay_alu instid0(VALU_DEP_2) | instskip(NEXT) | instid1(VALU_DEP_2)
	v_sub_co_u32 v7, vcc_lo, v5, v7
	v_add3_u32 v8, v8, v11, v10
	s_delay_alu instid0(VALU_DEP_1) | instskip(NEXT) | instid1(VALU_DEP_1)
	v_sub_nc_u32_e32 v10, v6, v8
	v_subrev_co_ci_u32_e64 v10, s2, s19, v10, vcc_lo
	v_add_co_u32 v11, s2, v2, 2
	s_delay_alu instid0(VALU_DEP_1) | instskip(SKIP_3) | instid1(VALU_DEP_3)
	v_add_co_ci_u32_e64 v12, s2, 0, v9, s2
	v_sub_co_u32 v13, s2, v7, s18
	v_sub_co_ci_u32_e32 v8, vcc_lo, v6, v8, vcc_lo
	v_subrev_co_ci_u32_e64 v10, s2, 0, v10, s2
	v_cmp_le_u32_e32 vcc_lo, s18, v13
	s_delay_alu instid0(VALU_DEP_3) | instskip(SKIP_1) | instid1(VALU_DEP_4)
	v_cmp_eq_u32_e64 s2, s19, v8
	v_cndmask_b32_e64 v13, 0, -1, vcc_lo
	v_cmp_le_u32_e32 vcc_lo, s19, v10
	v_cndmask_b32_e64 v14, 0, -1, vcc_lo
	v_cmp_le_u32_e32 vcc_lo, s18, v7
	;; [unrolled: 2-line block ×3, first 2 shown]
	v_cndmask_b32_e64 v15, 0, -1, vcc_lo
	v_cmp_eq_u32_e32 vcc_lo, s19, v10
	s_delay_alu instid0(VALU_DEP_2) | instskip(SKIP_3) | instid1(VALU_DEP_3)
	v_cndmask_b32_e64 v7, v15, v7, s2
	v_cndmask_b32_e32 v10, v14, v13, vcc_lo
	v_add_co_u32 v13, vcc_lo, v2, 1
	v_add_co_ci_u32_e32 v14, vcc_lo, 0, v9, vcc_lo
	v_cmp_ne_u32_e32 vcc_lo, 0, v10
	s_delay_alu instid0(VALU_DEP_2) | instskip(NEXT) | instid1(VALU_DEP_4)
	v_cndmask_b32_e32 v8, v14, v12, vcc_lo
	v_cndmask_b32_e32 v10, v13, v11, vcc_lo
	v_cmp_ne_u32_e32 vcc_lo, 0, v7
	s_delay_alu instid0(VALU_DEP_2)
	v_dual_cndmask_b32 v7, v2, v10 :: v_dual_cndmask_b32 v8, v9, v8
.LBB0_4:                                ;   in Loop: Header=BB0_2 Depth=1
	s_and_not1_saveexec_b32 s2, s3
	s_cbranch_execz .LBB0_6
; %bb.5:                                ;   in Loop: Header=BB0_2 Depth=1
	v_cvt_f32_u32_e32 v2, s18
	s_sub_i32 s3, 0, s18
	s_delay_alu instid0(VALU_DEP_1) | instskip(SKIP_2) | instid1(VALU_DEP_1)
	v_rcp_iflag_f32_e32 v2, v2
	s_waitcnt_depctr 0xfff
	v_mul_f32_e32 v2, 0x4f7ffffe, v2
	v_cvt_u32_f32_e32 v2, v2
	s_delay_alu instid0(VALU_DEP_1) | instskip(NEXT) | instid1(VALU_DEP_1)
	v_mul_lo_u32 v7, s3, v2
	v_mul_hi_u32 v7, v2, v7
	s_delay_alu instid0(VALU_DEP_1) | instskip(NEXT) | instid1(VALU_DEP_1)
	v_add_nc_u32_e32 v2, v2, v7
	v_mul_hi_u32 v2, v5, v2
	s_delay_alu instid0(VALU_DEP_1) | instskip(SKIP_1) | instid1(VALU_DEP_2)
	v_mul_lo_u32 v7, v2, s18
	v_add_nc_u32_e32 v8, 1, v2
	v_sub_nc_u32_e32 v7, v5, v7
	s_delay_alu instid0(VALU_DEP_1) | instskip(SKIP_1) | instid1(VALU_DEP_2)
	v_subrev_nc_u32_e32 v9, s18, v7
	v_cmp_le_u32_e32 vcc_lo, s18, v7
	v_dual_cndmask_b32 v7, v7, v9 :: v_dual_cndmask_b32 v2, v2, v8
	s_delay_alu instid0(VALU_DEP_1) | instskip(NEXT) | instid1(VALU_DEP_2)
	v_cmp_le_u32_e32 vcc_lo, s18, v7
	v_add_nc_u32_e32 v8, 1, v2
	s_delay_alu instid0(VALU_DEP_1)
	v_dual_cndmask_b32 v7, v2, v8 :: v_dual_mov_b32 v8, v1
.LBB0_6:                                ;   in Loop: Header=BB0_2 Depth=1
	s_or_b32 exec_lo, exec_lo, s2
	s_load_b64 s[2:3], s[12:13], 0x0
	s_delay_alu instid0(VALU_DEP_1) | instskip(NEXT) | instid1(VALU_DEP_2)
	v_mul_lo_u32 v2, v8, s18
	v_mul_lo_u32 v11, v7, s19
	v_mad_u64_u32 v[9:10], null, v7, s18, 0
	s_add_u32 s16, s16, 1
	s_addc_u32 s17, s17, 0
	s_add_u32 s12, s12, 8
	s_addc_u32 s13, s13, 0
	;; [unrolled: 2-line block ×3, first 2 shown]
	s_delay_alu instid0(VALU_DEP_1) | instskip(SKIP_1) | instid1(VALU_DEP_2)
	v_add3_u32 v2, v10, v11, v2
	v_sub_co_u32 v9, vcc_lo, v5, v9
	v_sub_co_ci_u32_e32 v2, vcc_lo, v6, v2, vcc_lo
	s_waitcnt lgkmcnt(0)
	s_delay_alu instid0(VALU_DEP_2) | instskip(NEXT) | instid1(VALU_DEP_2)
	v_mul_lo_u32 v10, s3, v9
	v_mul_lo_u32 v2, s2, v2
	v_mad_u64_u32 v[5:6], null, s2, v9, v[3:4]
	v_cmp_ge_u64_e64 s2, s[16:17], s[6:7]
	s_delay_alu instid0(VALU_DEP_1) | instskip(NEXT) | instid1(VALU_DEP_2)
	s_and_b32 vcc_lo, exec_lo, s2
	v_add3_u32 v4, v10, v6, v2
	s_delay_alu instid0(VALU_DEP_3)
	v_mov_b32_e32 v3, v5
	s_cbranch_vccnz .LBB0_9
; %bb.7:                                ;   in Loop: Header=BB0_2 Depth=1
	v_dual_mov_b32 v5, v7 :: v_dual_mov_b32 v6, v8
	s_branch .LBB0_2
.LBB0_8:
	v_dual_mov_b32 v8, v6 :: v_dual_mov_b32 v7, v5
.LBB0_9:
	s_lshl_b64 s[2:3], s[6:7], 3
                                        ; implicit-def: $vgpr32
                                        ; implicit-def: $vgpr34
                                        ; implicit-def: $vgpr72
                                        ; implicit-def: $vgpr76
                                        ; implicit-def: $vgpr12
                                        ; implicit-def: $vgpr50
                                        ; implicit-def: $vgpr80
                                        ; implicit-def: $vgpr66
                                        ; implicit-def: $vgpr70
                                        ; implicit-def: $vgpr28
                                        ; implicit-def: $vgpr78
                                        ; implicit-def: $vgpr46
                                        ; implicit-def: $vgpr30
                                        ; implicit-def: $vgpr74
                                        ; implicit-def: $vgpr68
                                        ; implicit-def: $vgpr26
                                        ; implicit-def: $vgpr60
                                        ; implicit-def: $vgpr82
                                        ; implicit-def: $vgpr22
                                        ; implicit-def: $vgpr36
                                        ; implicit-def: $vgpr14
                                        ; implicit-def: $vgpr9
                                        ; implicit-def: $vgpr20
                                        ; implicit-def: $vgpr54
                                        ; implicit-def: $vgpr84
                                        ; implicit-def: $vgpr24
	s_delay_alu instid0(SALU_CYCLE_1)
	s_add_u32 s2, s10, s2
	s_addc_u32 s3, s11, s3
	s_load_b64 s[2:3], s[2:3], 0x0
	s_load_b64 s[0:1], s[0:1], 0x20
	s_waitcnt lgkmcnt(0)
	v_mul_lo_u32 v5, s2, v8
	v_mul_lo_u32 v6, s3, v7
	v_mad_u64_u32 v[1:2], null, s2, v7, v[3:4]
	v_mul_hi_u32 v3, 0x20c49bb, v0
	v_cmp_gt_u64_e32 vcc_lo, s[0:1], v[7:8]
                                        ; implicit-def: $vgpr7
	s_delay_alu instid0(VALU_DEP_3) | instskip(NEXT) | instid1(VALU_DEP_3)
	v_add3_u32 v2, v6, v2, v5
                                        ; implicit-def: $vgpr5
	v_mul_u32_u24_e32 v3, 0x7d, v3
	s_delay_alu instid0(VALU_DEP_2) | instskip(NEXT) | instid1(VALU_DEP_2)
	v_lshlrev_b64 v[16:17], 3, v[1:2]
                                        ; implicit-def: $vgpr1
	v_sub_nc_u32_e32 v18, v0, v3
                                        ; implicit-def: $vgpr3
	s_and_saveexec_b32 s1, vcc_lo
	s_cbranch_execz .LBB0_11
; %bb.10:
	v_mov_b32_e32 v19, 0
	s_delay_alu instid0(VALU_DEP_3) | instskip(NEXT) | instid1(VALU_DEP_1)
	v_add_co_u32 v2, s0, s8, v16
	v_add_co_ci_u32_e64 v3, s0, s9, v17, s0
	s_delay_alu instid0(VALU_DEP_3) | instskip(NEXT) | instid1(VALU_DEP_1)
	v_lshlrev_b64 v[0:1], 3, v[18:19]
	v_add_co_u32 v31, s0, v2, v0
	s_delay_alu instid0(VALU_DEP_1) | instskip(NEXT) | instid1(VALU_DEP_2)
	v_add_co_ci_u32_e64 v32, s0, v3, v1, s0
	v_add_co_u32 v33, s0, 0x2000, v31
	s_delay_alu instid0(VALU_DEP_1) | instskip(SKIP_1) | instid1(VALU_DEP_1)
	v_add_co_ci_u32_e64 v34, s0, 0, v32, s0
	v_add_co_u32 v37, s0, 0x4000, v31
	v_add_co_ci_u32_e64 v38, s0, 0, v32, s0
	v_add_co_u32 v0, s0, 0x5000, v31
	s_delay_alu instid0(VALU_DEP_1) | instskip(SKIP_1) | instid1(VALU_DEP_1)
	v_add_co_ci_u32_e64 v1, s0, 0, v32, s0
	v_add_co_u32 v10, s0, 0x3000, v31
	v_add_co_ci_u32_e64 v11, s0, 0, v32, s0
	s_clause 0xd
	global_load_b64 v[6:7], v[33:34], off offset:2808
	global_load_b64 v[23:24], v[31:32], off
	global_load_b64 v[19:20], v[31:32], off offset:1000
	global_load_b64 v[13:14], v[31:32], off offset:2000
	;; [unrolled: 1-line block ×12, first 2 shown]
	v_add_co_u32 v0, s0, 0x1000, v31
	s_delay_alu instid0(VALU_DEP_1) | instskip(SKIP_1) | instid1(VALU_DEP_1)
	v_add_co_ci_u32_e64 v1, s0, 0, v32, s0
	v_add_co_u32 v39, s0, 0x6000, v31
	v_add_co_ci_u32_e64 v40, s0, 0, v32, s0
	s_clause 0x9
	global_load_b64 v[27:28], v[0:1], off offset:1904
	global_load_b64 v[2:3], v[0:1], off offset:2904
	;; [unrolled: 1-line block ×10, first 2 shown]
	v_add_co_u32 v31, s0, 0x7000, v31
	s_delay_alu instid0(VALU_DEP_1)
	v_add_co_ci_u32_e64 v32, s0, 0, v32, s0
	s_clause 0x5
	global_load_b64 v[35:36], v[33:34], off offset:3808
	global_load_b64 v[79:80], v[37:38], off offset:616
	;; [unrolled: 1-line block ×6, first 2 shown]
.LBB0_11:
	s_or_b32 exec_lo, exec_lo, s1
	s_waitcnt vmcnt(7)
	v_dual_add_f32 v10, v53, v83 :: v_dual_sub_f32 v37, v84, v54
	v_dual_add_f32 v15, v83, v23 :: v_dual_add_f32 v38, v8, v6
	s_waitcnt vmcnt(5)
	v_sub_f32_e32 v103, v35, v4
	s_delay_alu instid0(VALU_DEP_3) | instskip(SKIP_3) | instid1(VALU_DEP_4)
	v_dual_fmac_f32 v23, -0.5, v10 :: v_dual_add_f32 v10, v6, v19
	v_sub_f32_e32 v39, v7, v9
	v_fmac_f32_e32 v19, -0.5, v38
	v_add_f32_e32 v15, v53, v15
	v_fmamk_f32 v38, v37, 0xbf5db3d7, v23
	v_dual_add_f32 v10, v8, v10 :: v_dual_fmac_f32 v23, 0x3f5db3d7, v37
	v_add_f32_e32 v37, v7, v20
	v_add_f32_e32 v7, v9, v7
	s_waitcnt vmcnt(2)
	v_dual_add_f32 v41, v4, v35 :: v_dual_add_f32 v48, v33, v0
	v_mad_u32_u24 v104, v18, 12, 0
	v_add_f32_e32 v100, v9, v37
	v_fmamk_f32 v40, v39, 0xbf5db3d7, v19
	v_fmac_f32_e32 v19, 0x3f5db3d7, v39
	v_dual_sub_f32 v37, v36, v5 :: v_dual_fmac_f32 v20, -0.5, v7
	v_dual_add_f32 v7, v36, v14 :: v_dual_add_f32 v36, v5, v36
	v_dual_add_f32 v9, v35, v13 :: v_dual_add_f32 v42, v49, v79
	v_add_f32_e32 v35, v67, v25
	v_dual_add_f32 v39, v65, v69 :: v_dual_add_nc_u32 v112, 0x2ee0, v104
	s_delay_alu instid0(VALU_DEP_4) | instskip(SKIP_4) | instid1(VALU_DEP_3)
	v_fmac_f32_e32 v14, -0.5, v36
	v_add_f32_e32 v36, v45, v29
	v_dual_fmac_f32 v13, -0.5, v41 :: v_dual_add_f32 v102, v5, v7
	v_add_f32_e32 v5, v81, v21
	v_sub_f32_e32 v101, v6, v8
	v_dual_sub_f32 v7, v82, v60 :: v_dual_fmamk_f32 v8, v37, 0xbf5db3d7, v13
	v_add_f32_e32 v6, v4, v9
	v_add_f32_e32 v9, v59, v81
	v_dual_add_f32 v4, v59, v5 :: v_dual_add_f32 v5, v73, v67
	s_waitcnt vmcnt(1)
	v_add_f32_e32 v44, v71, v75
	v_lshl_add_u32 v85, v18, 2, 0
	v_fmac_f32_e32 v21, -0.5, v9
	v_add_f32_e32 v41, v69, v27
	v_fmac_f32_e32 v25, -0.5, v5
	v_dual_sub_f32 v5, v68, v74 :: v_dual_add_nc_u32 v106, 0xbb8, v104
	s_delay_alu instid0(VALU_DEP_4)
	v_fmamk_f32 v9, v7, 0xbf5db3d7, v21
	v_fmac_f32_e32 v21, 0x3f5db3d7, v7
	v_add_f32_e32 v7, v77, v45
	v_fmac_f32_e32 v13, 0x3f5db3d7, v37
	v_fmamk_f32 v37, v5, 0xbf5db3d7, v25
	v_fmac_f32_e32 v25, 0x3f5db3d7, v5
	v_dual_add_f32 v5, v77, v36 :: v_dual_add_nc_u32 v86, 0xa00, v85
	v_fmac_f32_e32 v29, -0.5, v7
	v_dual_sub_f32 v7, v46, v78 :: v_dual_add_nc_u32 v110, 0x232c, v104
	v_dual_fmac_f32 v27, -0.5, v39 :: v_dual_add_nc_u32 v90, 0x200, v85
	v_dual_sub_f32 v39, v70, v66 :: v_dual_add_nc_u32 v94, 0x1a00, v85
	s_delay_alu instid0(VALU_DEP_3)
	v_fmamk_f32 v36, v7, 0xbf5db3d7, v29
	v_fmac_f32_e32 v29, 0x3f5db3d7, v7
	v_add_nc_u32_e32 v88, 0x2e00, v85
	v_add_f32_e32 v7, v65, v41
	v_dual_add_f32 v41, v79, v2 :: v_dual_add_nc_u32 v92, 0x2600, v85
	v_fmac_f32_e32 v2, -0.5, v42
	v_dual_sub_f32 v42, v80, v50 :: v_dual_fmamk_f32 v43, v39, 0xbf5db3d7, v27
	v_fmac_f32_e32 v27, 0x3f5db3d7, v39
	s_delay_alu instid0(VALU_DEP_4)
	v_add_f32_e32 v39, v49, v41
	v_dual_add_f32 v41, v75, v11 :: v_dual_add_nc_u32 v98, 0x1200, v85
	v_dual_fmac_f32 v11, -0.5, v44 :: v_dual_add_nc_u32 v96, 0x2a00, v85
	v_dual_sub_f32 v44, v76, v72 :: v_dual_fmamk_f32 v47, v42, 0xbf5db3d7, v2
	v_fmac_f32_e32 v2, 0x3f5db3d7, v42
	s_waitcnt vmcnt(0)
	v_dual_add_f32 v42, v31, v33 :: v_dual_add_nc_u32 v105, 0x5dc, v104
	s_delay_alu instid0(VALU_DEP_3)
	v_fmamk_f32 v51, v44, 0xbf5db3d7, v11
	v_fmac_f32_e32 v11, 0x3f5db3d7, v44
	v_add_f32_e32 v44, v31, v48
	v_add_nc_u32_e32 v107, 0x1194, v104
	v_dual_add_f32 v35, v73, v35 :: v_dual_add_nc_u32 v108, 0x1770, v104
	v_dual_add_f32 v41, v71, v41 :: v_dual_fmac_f32 v0, -0.5, v42
	v_sub_f32_e32 v42, v34, v32
	ds_store_2addr_b32 v105, v10, v40 offset1:1
	ds_store_2addr_b32 v106, v6, v8 offset1:1
	ds_store_2addr_b32 v107, v4, v9 offset1:1
	ds_store_2addr_b32 v108, v35, v37 offset1:1
	v_add_nc_u32_e32 v109, 0x1d50, v104
	v_add_nc_u32_e32 v111, 0x2904, v104
	ds_store_2addr_b32 v104, v15, v38 offset1:1
	ds_store_b32 v104, v23 offset:8
	ds_store_b32 v104, v19 offset:1508
	ds_store_b32 v104, v13 offset:3008
	ds_store_b32 v104, v21 offset:4508
	ds_store_b32 v104, v25 offset:6008
	ds_store_b32 v104, v5 offset:7500
	ds_store_2addr_b32 v109, v36, v29 offset1:1
	ds_store_b32 v104, v7 offset:9000
	ds_store_2addr_b32 v110, v43, v27 offset1:1
	ds_store_2addr_b32 v111, v39, v47 offset1:1
	;; [unrolled: 1-line block ×3, first 2 shown]
	ds_store_b32 v104, v2 offset:10508
	ds_store_b32 v104, v11 offset:12008
	;; [unrolled: 1-line block ×3, first 2 shown]
	v_dual_add_f32 v2, v60, v82 :: v_dual_sub_f32 v53, v83, v53
	v_add_f32_e32 v21, v74, v68
	v_add_f32_e32 v19, v82, v22
	s_delay_alu instid0(VALU_DEP_3) | instskip(SKIP_1) | instid1(VALU_DEP_4)
	v_dual_sub_f32 v23, v81, v59 :: v_dual_fmac_f32 v22, -0.5, v2
	v_add_f32_e32 v2, v68, v26
	v_dual_fmac_f32 v26, -0.5, v21 :: v_dual_add_f32 v21, v84, v24
	v_sub_f32_e32 v45, v45, v77
	v_add_f32_e32 v59, v54, v84
	v_dual_sub_f32 v65, v69, v65 :: v_dual_fmamk_f32 v48, v42, 0xbf5db3d7, v0
	s_delay_alu instid0(VALU_DEP_4)
	v_add_f32_e32 v54, v54, v21
	v_add_f32_e32 v21, v78, v46
	v_fmac_f32_e32 v0, 0x3f5db3d7, v42
	v_fmamk_f32 v15, v103, 0x3f5db3d7, v14
	v_dual_sub_f32 v25, v67, v73 :: v_dual_fmac_f32 v14, 0xbf5db3d7, v103
	v_dual_add_f32 v19, v60, v19 :: v_dual_add_f32 v60, v46, v30
	v_add_f32_e32 v46, v70, v28
	v_add_f32_e32 v67, v66, v70
	v_dual_fmac_f32 v30, -0.5, v21 :: v_dual_add_nc_u32 v13, 0x34c0, v104
	v_dual_add_f32 v68, v50, v80 :: v_dual_add_nc_u32 v87, 0x2200, v85
	s_delay_alu instid0(VALU_DEP_4)
	v_add_f32_e32 v46, v66, v46
	v_add_f32_e32 v66, v80, v3
	v_fmac_f32_e32 v28, -0.5, v67
	ds_store_2addr_b32 v13, v48, v0 offset1:1
	v_fmamk_f32 v0, v101, 0x3f5db3d7, v20
	v_fmac_f32_e32 v20, 0xbf5db3d7, v101
	v_fmamk_f32 v27, v23, 0x3f5db3d7, v22
	v_fmac_f32_e32 v22, 0xbf5db3d7, v23
	;; [unrolled: 2-line block ×3, first 2 shown]
	v_dual_fmac_f32 v24, -0.5, v59 :: v_dual_add_f32 v59, v72, v76
	v_add_nc_u32_e32 v91, 0xe00, v85
	v_sub_f32_e32 v49, v79, v49
	v_dual_add_f32 v69, v76, v12 :: v_dual_add_f32 v50, v50, v66
	v_dual_sub_f32 v66, v75, v71 :: v_dual_fmac_f32 v3, -0.5, v68
	v_dual_add_f32 v21, v32, v34 :: v_dual_fmac_f32 v12, -0.5, v59
	v_add_f32_e32 v34, v34, v1
	v_dual_add_f32 v60, v78, v60 :: v_dual_add_nc_u32 v89, 0x1600, v85
	v_add_nc_u32_e32 v93, 0x3200, v85
	s_waitcnt lgkmcnt(0)
	s_delay_alu instid0(VALU_DEP_3)
	v_add_f32_e32 v32, v32, v34
	s_barrier
	buffer_gl0_inv
	ds_load_2addr_b32 v[8:9], v85 offset1:125
	ds_load_2addr_b32 v[57:58], v86 offset0:110 offset1:235
	ds_load_2addr_b32 v[47:48], v89 offset0:92 offset1:217
	;; [unrolled: 1-line block ×4, first 2 shown]
	v_add_nc_u32_e32 v95, 0x600, v85
	v_add_nc_u32_e32 v99, 0x1e00, v85
	;; [unrolled: 1-line block ×3, first 2 shown]
	ds_load_2addr_b32 v[6:7], v90 offset0:122 offset1:247
	ds_load_2addr_b32 v[63:64], v91 offset0:104 offset1:229
	;; [unrolled: 1-line block ×10, first 2 shown]
	v_sub_f32_e32 v31, v33, v31
	v_fmamk_f32 v33, v66, 0x3f5db3d7, v12
	v_fmac_f32_e32 v12, 0xbf5db3d7, v66
	v_fmamk_f32 v70, v53, 0x3f5db3d7, v24
	v_fmac_f32_e32 v24, 0xbf5db3d7, v53
	;; [unrolled: 2-line block ×3, first 2 shown]
	v_and_b32_e32 v49, 0xff, v18
	v_fmac_f32_e32 v1, -0.5, v21
	v_add_nc_u32_e32 v59, 0x7d, v18
	v_dual_add_f32 v2, v74, v2 :: v_dual_fmamk_f32 v29, v25, 0x3f5db3d7, v26
	s_delay_alu instid0(VALU_DEP_4) | instskip(NEXT) | instid1(VALU_DEP_4)
	v_mul_lo_u16 v21, 0xab, v49
	v_fmamk_f32 v34, v31, 0x3f5db3d7, v1
	s_delay_alu instid0(VALU_DEP_4)
	v_and_b32_e32 v45, 0xff, v59
	s_waitcnt lgkmcnt(0)
	s_barrier
	v_lshrrev_b16 v21, 9, v21
	buffer_gl0_inv
	v_fmac_f32_e32 v26, 0xbf5db3d7, v25
	ds_store_2addr_b32 v105, v100, v0 offset1:1
	ds_store_2addr_b32 v106, v102, v15 offset1:1
	;; [unrolled: 1-line block ×4, first 2 shown]
	v_mul_lo_u16 v2, 0xab, v45
	v_mul_lo_u16 v0, v21, 3
	ds_store_2addr_b32 v104, v54, v70 offset1:1
	ds_store_b32 v104, v24 offset:8
	ds_store_b32 v104, v20 offset:1508
	;; [unrolled: 1-line block ×6, first 2 shown]
	ds_store_2addr_b32 v109, v23, v30 offset1:1
	ds_store_b32 v104, v46 offset:9000
	v_add_nc_u32_e32 v60, 0xfa, v18
	v_add_nc_u32_e32 v54, 0x271, v18
	v_lshrrev_b16 v19, 9, v2
	v_sub_nc_u16 v0, v18, v0
	v_fmac_f32_e32 v1, 0xbf5db3d7, v31
	v_dual_add_f32 v69, v72, v69 :: v_dual_and_b32 v46, 0xffff, v60
	s_delay_alu instid0(VALU_DEP_4) | instskip(NEXT) | instid1(VALU_DEP_4)
	v_mul_lo_u16 v2, v19, 3
	v_and_b32_e32 v27, 0xff, v0
	v_cmp_gt_u32_e64 s0, 0x4b, v18
	s_delay_alu instid0(VALU_DEP_3) | instskip(NEXT) | instid1(VALU_DEP_3)
	v_sub_nc_u16 v0, v59, v2
	v_dual_fmamk_f32 v25, v65, 0x3f5db3d7, v28 :: v_dual_lshlrev_b32 v2, 5, v27
	v_fmac_f32_e32 v28, 0xbf5db3d7, v65
	v_add_nc_u32_e32 v65, 0x177, v18
	s_delay_alu instid0(VALU_DEP_4)
	v_and_b32_e32 v29, 0xff, v0
	ds_store_2addr_b32 v110, v25, v28 offset1:1
	ds_store_2addr_b32 v111, v50, v53 offset1:1
	;; [unrolled: 1-line block ×3, first 2 shown]
	ds_store_b32 v104, v3 offset:10508
	ds_store_b32 v104, v12 offset:12008
	;; [unrolled: 1-line block ×3, first 2 shown]
	ds_store_2addr_b32 v13, v34, v1 offset1:1
	v_mul_u32_u24_e32 v1, 0xaaab, v46
	v_and_b32_e32 v50, 0xffff, v65
	s_waitcnt lgkmcnt(0)
	s_barrier
	buffer_gl0_inv
	v_lshrrev_b32_e32 v20, 17, v1
	v_mul_u32_u24_e32 v0, 0xaaab, v50
	s_clause 0x1
	global_load_b128 v[68:71], v2, s[4:5]
	global_load_b128 v[72:75], v2, s[4:5] offset:16
	v_mul_lo_u16 v1, v20, 3
	v_lshrrev_b32_e32 v24, 17, v0
	v_lshlrev_b32_e32 v0, 5, v29
	s_delay_alu instid0(VALU_DEP_3) | instskip(SKIP_4) | instid1(VALU_DEP_1)
	v_sub_nc_u16 v1, v60, v1
	s_clause 0x1
	global_load_b128 v[107:110], v0, s[4:5]
	global_load_b128 v[111:114], v0, s[4:5] offset:16
	v_and_b32_e32 v106, 0xffff, v1
	v_lshlrev_b32_e32 v0, 5, v106
	s_clause 0x1
	global_load_b128 v[115:118], v0, s[4:5]
	global_load_b128 v[123:126], v0, s[4:5] offset:16
	v_add_nc_u32_e32 v53, 0x1f4, v18
	s_delay_alu instid0(VALU_DEP_1) | instskip(NEXT) | instid1(VALU_DEP_1)
	v_and_b32_e32 v66, 0xffff, v53
	v_mul_u32_u24_e32 v3, 0xaaab, v66
	s_delay_alu instid0(VALU_DEP_1) | instskip(NEXT) | instid1(VALU_DEP_1)
	v_lshrrev_b32_e32 v22, 17, v3
	v_mul_lo_u16 v1, v22, 3
	s_delay_alu instid0(VALU_DEP_1) | instskip(NEXT) | instid1(VALU_DEP_1)
	v_sub_nc_u16 v1, v53, v1
	v_and_b32_e32 v30, 0xffff, v1
	s_delay_alu instid0(VALU_DEP_1) | instskip(SKIP_3) | instid1(VALU_DEP_2)
	v_lshlrev_b32_e32 v0, 5, v30
	global_load_b128 v[131:134], v0, s[4:5]
	v_mul_lo_u16 v2, v24, 3
	v_mul_u32_u24_e32 v24, 60, v24
	v_sub_nc_u16 v2, v65, v2
	s_delay_alu instid0(VALU_DEP_1) | instskip(NEXT) | instid1(VALU_DEP_1)
	v_and_b32_e32 v26, 0xffff, v2
	v_lshlrev_b32_e32 v2, 5, v26
	v_lshlrev_b32_e32 v26, 2, v26
	s_clause 0x1
	global_load_b128 v[119:122], v2, s[4:5]
	global_load_b128 v[127:130], v2, s[4:5] offset:16
	v_and_b32_e32 v67, 0xffff, v54
	s_delay_alu instid0(VALU_DEP_1) | instskip(NEXT) | instid1(VALU_DEP_1)
	v_mul_u32_u24_e32 v1, 0xaaab, v67
	v_lshrrev_b32_e32 v23, 17, v1
	s_delay_alu instid0(VALU_DEP_1) | instskip(NEXT) | instid1(VALU_DEP_1)
	v_mul_lo_u16 v1, v23, 3
	v_sub_nc_u16 v1, v54, v1
	s_delay_alu instid0(VALU_DEP_1) | instskip(NEXT) | instid1(VALU_DEP_1)
	v_and_b32_e32 v25, 0xffff, v1
	v_lshlrev_b32_e32 v1, 5, v25
	s_clause 0x2
	global_load_b128 v[135:138], v1, s[4:5]
	global_load_b128 v[139:142], v0, s[4:5] offset:16
	global_load_b128 v[0:3], v1, s[4:5] offset:16
	ds_load_2addr_b32 v[76:77], v86 offset0:110 offset1:235
	ds_load_2addr_b32 v[82:83], v89 offset0:92 offset1:217
	;; [unrolled: 1-line block ×12, first 2 shown]
	s_waitcnt vmcnt(11) lgkmcnt(10)
	v_dual_mul_f32 v28, v57, v69 :: v_dual_mul_f32 v31, v82, v71
	s_waitcnt vmcnt(10) lgkmcnt(9)
	v_mul_f32_e32 v32, v143, v73
	s_waitcnt lgkmcnt(8)
	v_mul_f32_e32 v34, v145, v75
	v_fma_f32 v101, v76, v68, -v28
	s_delay_alu instid0(VALU_DEP_3) | instskip(NEXT) | instid1(VALU_DEP_3)
	v_fmac_f32_e32 v32, v43, v72
	v_fmac_f32_e32 v34, v41, v74
	s_waitcnt vmcnt(9)
	v_dual_mul_f32 v80, v77, v108 :: v_dual_mul_f32 v33, v76, v69
	v_mul_f32_e32 v69, v47, v71
	v_mul_f32_e32 v71, v43, v73
	v_dual_mul_f32 v73, v41, v75 :: v_dual_mul_f32 v28, v58, v108
	s_delay_alu instid0(VALU_DEP_4) | instskip(NEXT) | instid1(VALU_DEP_3)
	v_fmac_f32_e32 v80, v58, v107
	v_fma_f32 v104, v143, v72, -v71
	s_delay_alu instid0(VALU_DEP_3) | instskip(SKIP_4) | instid1(VALU_DEP_3)
	v_fma_f32 v100, v77, v107, -v28
	s_waitcnt vmcnt(7) lgkmcnt(6)
	v_dual_mul_f32 v71, v149, v118 :: v_dual_mul_f32 v72, v147, v116
	v_dual_mul_f32 v75, v48, v110 :: v_dual_mul_f32 v76, v63, v116
	v_mul_f32_e32 v78, v61, v118
	v_fmac_f32_e32 v72, v63, v115
	s_delay_alu instid0(VALU_DEP_3) | instskip(NEXT) | instid1(VALU_DEP_4)
	v_fma_f32 v102, v83, v109, -v75
	v_fma_f32 v77, v147, v115, -v76
	s_delay_alu instid0(VALU_DEP_4)
	v_fma_f32 v78, v149, v117, -v78
	s_waitcnt vmcnt(5)
	v_mul_f32_e32 v28, v39, v132
	v_fma_f32 v105, v145, v74, -v73
	s_waitcnt lgkmcnt(4)
	v_dual_mul_f32 v74, v153, v126 :: v_dual_mul_f32 v81, v144, v112
	s_delay_alu instid0(VALU_DEP_1)
	v_fmac_f32_e32 v74, v51, v125
	s_waitcnt vmcnt(4)
	v_mul_f32_e32 v108, v64, v120
	s_waitcnt vmcnt(3)
	v_mul_f32_e32 v58, v154, v130
	v_fma_f32 v103, v82, v70, -v69
	v_dual_mul_f32 v82, v146, v114 :: v_dual_fmac_f32 v33, v57, v68
	s_delay_alu instid0(VALU_DEP_3) | instskip(SKIP_1) | instid1(VALU_DEP_3)
	v_dual_mul_f32 v43, v42, v114 :: v_dual_fmac_f32 v58, v52, v129
	v_mul_f32_e32 v68, v150, v122
	v_fmac_f32_e32 v82, v42, v113
	v_dual_mul_f32 v116, v56, v128 :: v_dual_fmac_f32 v31, v47, v70
	v_mul_f32_e32 v70, v152, v128
	s_delay_alu instid0(VALU_DEP_4)
	v_dual_fmac_f32 v68, v62, v121 :: v_dual_mul_f32 v79, v83, v110
	s_waitcnt lgkmcnt(3)
	v_dual_mul_f32 v110, v62, v122 :: v_dual_mul_f32 v57, v155, v132
	s_waitcnt lgkmcnt(2)
	v_mul_f32_e32 v47, v157, v134
	v_fmac_f32_e32 v81, v44, v111
	v_fmac_f32_e32 v70, v56, v127
	;; [unrolled: 1-line block ×3, first 2 shown]
	v_dual_mul_f32 v69, v148, v120 :: v_dual_mul_f32 v114, v51, v126
	v_mul_f32_e32 v118, v52, v130
	v_fma_f32 v83, v146, v113, -v43
	v_fma_f32 v63, v148, v119, -v108
	s_delay_alu instid0(VALU_DEP_4) | instskip(NEXT) | instid1(VALU_DEP_4)
	v_fma_f32 v75, v153, v125, -v114
	v_fma_f32 v56, v154, v129, -v118
	s_waitcnt vmcnt(2)
	v_mul_f32_e32 v42, v156, v136
	s_waitcnt vmcnt(1) lgkmcnt(0)
	v_dual_mul_f32 v73, v151, v124 :: v_dual_mul_f32 v62, v12, v142
	v_mul_f32_e32 v41, v44, v112
	v_mul_f32_e32 v112, v55, v124
	v_fma_f32 v44, v155, v131, -v28
	v_mul_f32_e32 v28, v40, v136
	v_fmac_f32_e32 v62, v10, v141
	v_fmac_f32_e32 v42, v40, v135
	;; [unrolled: 1-line block ×3, first 2 shown]
	v_mul_f32_e32 v55, v14, v140
	v_fmac_f32_e32 v57, v39, v131
	v_fma_f32 v39, v156, v135, -v28
	v_dual_mul_f32 v28, v35, v140 :: v_dual_fmac_f32 v71, v61, v117
	s_delay_alu instid0(VALU_DEP_4) | instskip(SKIP_1) | instid1(VALU_DEP_3)
	v_fmac_f32_e32 v55, v35, v139
	v_dual_mul_f32 v35, v10, v142 :: v_dual_add_f32 v10, v31, v32
	v_fma_f32 v51, v14, v139, -v28
	s_waitcnt vmcnt(0)
	v_dual_sub_f32 v14, v34, v32 :: v_dual_mul_f32 v109, v13, v3
	s_delay_alu instid0(VALU_DEP_3)
	v_fma_f32 v52, v12, v141, -v35
	v_sub_f32_e32 v35, v103, v104
	v_mul_f32_e32 v43, v15, v1
	v_mul_f32_e32 v1, v36, v1
	v_fma_f32 v10, -0.5, v10, v8
	v_sub_f32_e32 v12, v101, v105
	v_fma_f32 v84, v144, v111, -v41
	v_fmac_f32_e32 v43, v36, v0
	v_fma_f32 v107, v15, v0, -v1
	v_mul_f32_e32 v0, v11, v3
	v_fmac_f32_e32 v69, v64, v119
	v_add_f32_e32 v1, v8, v33
	v_sub_f32_e32 v3, v33, v31
	v_and_b32_e32 v15, 0xffff, v21
	v_fmamk_f32 v21, v12, 0xbf737871, v10
	v_fmac_f32_e32 v47, v37, v133
	s_delay_alu instid0(VALU_DEP_4) | instskip(SKIP_3) | instid1(VALU_DEP_4)
	v_dual_add_f32 v1, v1, v31 :: v_dual_add_f32 v14, v3, v14
	v_lshlrev_b32_e32 v3, 2, v27
	v_mul_u32_u24_e32 v15, 60, v15
	v_fma_f32 v108, v13, v2, -v0
	v_add_f32_e32 v1, v1, v32
	v_add_f32_e32 v13, v33, v34
	v_dual_add_f32 v36, v9, v80 :: v_dual_fmac_f32 v21, 0xbf167918, v35
	v_fmac_f32_e32 v109, v11, v2
	v_add3_u32 v111, 0, v15, v3
	v_add_f32_e32 v11, v1, v34
	v_fma_f32 v8, -0.5, v13, v8
	v_fmac_f32_e32 v21, 0x3e9e377a, v14
	v_sub_f32_e32 v13, v31, v33
	v_sub_f32_e32 v15, v32, v34
	v_mul_f32_e32 v41, v37, v134
	ds_load_2addr_b32 v[2:3], v85 offset1:125
	ds_load_2addr_b32 v[27:28], v90 offset0:122 offset1:247
	ds_load_2addr_b32 v[0:1], v95 offset0:116 offset1:241
	s_waitcnt lgkmcnt(0)
	s_barrier
	buffer_gl0_inv
	ds_store_2addr_b32 v111, v11, v21 offset1:3
	v_fmamk_f32 v11, v35, 0x3f737871, v8
	v_add_f32_e32 v21, v79, v81
	v_add_f32_e32 v13, v13, v15
	v_dual_add_f32 v15, v80, v82 :: v_dual_fmac_f32 v8, 0xbf737871, v35
	v_fma_f32 v64, v150, v121, -v110
	v_fma_f32 v61, v152, v127, -v116
	;; [unrolled: 1-line block ×3, first 2 shown]
	v_dual_mul_f32 v41, v158, v138 :: v_dual_fmac_f32 v10, 0x3f737871, v12
	v_mul_f32_e32 v37, v38, v138
	v_fmac_f32_e32 v11, 0xbf167918, v12
	v_fma_f32 v21, -0.5, v21, v9
	v_fmac_f32_e32 v9, -0.5, v15
	v_sub_f32_e32 v15, v102, v84
	v_fmac_f32_e32 v8, 0x3f167918, v12
	v_fma_f32 v76, v151, v123, -v112
	v_dual_fmac_f32 v41, v38, v137 :: v_dual_sub_f32 v112, v100, v83
	v_sub_f32_e32 v12, v79, v80
	v_fma_f32 v40, v158, v137, -v37
	v_dual_sub_f32 v37, v81, v82 :: v_dual_fmamk_f32 v38, v15, 0x3f737871, v9
	v_fmac_f32_e32 v11, 0x3e9e377a, v13
	v_fmac_f32_e32 v10, 0x3f167918, v35
	;; [unrolled: 1-line block ×4, first 2 shown]
	v_dual_add_f32 v12, v12, v37 :: v_dual_and_b32 v13, 0xffff, v19
	v_fmac_f32_e32 v38, 0xbf167918, v112
	v_fmac_f32_e32 v10, 0x3e9e377a, v14
	v_dual_fmac_f32 v9, 0x3f167918, v112 :: v_dual_lshlrev_b32 v14, 2, v29
	s_delay_alu instid0(VALU_DEP_4)
	v_mul_u32_u24_e32 v13, 60, v13
	v_sub_f32_e32 v19, v80, v79
	v_sub_f32_e32 v29, v82, v81
	v_add_f32_e32 v35, v36, v79
	v_fmamk_f32 v36, v112, 0xbf737871, v21
	v_fmac_f32_e32 v38, 0x3e9e377a, v12
	v_fmac_f32_e32 v9, 0x3e9e377a, v12
	v_add3_u32 v110, 0, v13, v14
	v_add_f32_e32 v12, v19, v29
	v_dual_add_f32 v13, v35, v81 :: v_dual_fmac_f32 v36, 0xbf167918, v15
	ds_store_2addr_b32 v111, v11, v8 offset0:6 offset1:9
	ds_store_b32 v111, v10 offset:48
	ds_store_2addr_b32 v110, v38, v9 offset0:6 offset1:9
	v_dual_add_f32 v9, v71, v73 :: v_dual_sub_f32 v10, v72, v71
	v_add_f32_e32 v8, v13, v82
	v_dual_fmac_f32 v36, 0x3e9e377a, v12 :: v_dual_sub_f32 v11, v74, v73
	v_add_f32_e32 v13, v6, v72
	s_delay_alu instid0(VALU_DEP_4)
	v_fma_f32 v9, -0.5, v9, v6
	v_dual_sub_f32 v14, v77, v75 :: v_dual_fmac_f32 v21, 0x3f737871, v112
	ds_store_2addr_b32 v110, v8, v36 offset1:3
	v_add_f32_e32 v8, v10, v11
	v_dual_add_f32 v10, v13, v71 :: v_dual_fmamk_f32 v11, v14, 0xbf737871, v9
	v_sub_f32_e32 v13, v78, v76
	v_mul_u32_u24_e32 v19, 60, v20
	v_dual_add_f32 v20, v72, v74 :: v_dual_fmac_f32 v21, 0x3f167918, v15
	s_delay_alu instid0(VALU_DEP_4) | instskip(NEXT) | instid1(VALU_DEP_4)
	v_dual_add_f32 v10, v10, v73 :: v_dual_lshlrev_b32 v15, 2, v106
	v_fmac_f32_e32 v11, 0xbf167918, v13
	s_delay_alu instid0(VALU_DEP_3) | instskip(NEXT) | instid1(VALU_DEP_4)
	v_fma_f32 v6, -0.5, v20, v6
	v_fmac_f32_e32 v21, 0x3e9e377a, v12
	s_delay_alu instid0(VALU_DEP_4) | instskip(NEXT) | instid1(VALU_DEP_4)
	v_add3_u32 v106, 0, v19, v15
	v_dual_add_f32 v10, v10, v74 :: v_dual_fmac_f32 v11, 0x3e9e377a, v8
	v_dual_sub_f32 v12, v71, v72 :: v_dual_sub_f32 v15, v73, v74
	v_fmamk_f32 v19, v13, 0x3f737871, v6
	v_fmac_f32_e32 v6, 0xbf737871, v13
	v_fmac_f32_e32 v9, 0x3f737871, v14
	ds_store_b32 v110, v21 offset:48
	ds_store_2addr_b32 v106, v10, v11 offset1:3
	v_dual_add_f32 v10, v12, v15 :: v_dual_fmac_f32 v19, 0xbf167918, v14
	v_dual_fmac_f32 v6, 0x3f167918, v14 :: v_dual_fmac_f32 v9, 0x3f167918, v13
	v_add_f32_e32 v14, v7, v69
	v_sub_f32_e32 v13, v68, v69
	s_delay_alu instid0(VALU_DEP_4) | instskip(NEXT) | instid1(VALU_DEP_4)
	v_fmac_f32_e32 v19, 0x3e9e377a, v10
	v_dual_fmac_f32 v6, 0x3e9e377a, v10 :: v_dual_fmac_f32 v9, 0x3e9e377a, v8
	v_sub_f32_e32 v15, v70, v58
	ds_store_2addr_b32 v106, v19, v6 offset0:6 offset1:9
	ds_store_b32 v106, v9 offset:48
	v_add_f32_e32 v6, v47, v55
	v_add_f32_e32 v12, v69, v58
	;; [unrolled: 1-line block ×3, first 2 shown]
	v_dual_sub_f32 v10, v69, v68 :: v_dual_sub_f32 v13, v58, v70
	v_add_f32_e32 v14, v14, v68
	v_fma_f32 v6, -0.5, v6, v4
	v_add_f32_e32 v11, v68, v70
	s_delay_alu instid0(VALU_DEP_4) | instskip(NEXT) | instid1(VALU_DEP_4)
	v_dual_sub_f32 v21, v63, v56 :: v_dual_add_f32 v10, v10, v13
	v_dual_add_f32 v13, v14, v70 :: v_dual_sub_f32 v14, v48, v51
	s_delay_alu instid0(VALU_DEP_3) | instskip(SKIP_3) | instid1(VALU_DEP_4)
	v_fma_f32 v11, -0.5, v11, v7
	v_dual_fmac_f32 v7, -0.5, v12 :: v_dual_sub_f32 v12, v64, v61
	v_add3_u32 v112, 0, v24, v26
	v_sub_f32_e32 v115, v31, v32
	v_fmamk_f32 v15, v21, 0xbf737871, v11
	s_delay_alu instid0(VALU_DEP_4) | instskip(SKIP_1) | instid1(VALU_DEP_3)
	v_dual_sub_f32 v9, v57, v47 :: v_dual_fmamk_f32 v20, v12, 0x3f737871, v7
	v_dual_fmac_f32 v7, 0xbf737871, v12 :: v_dual_sub_f32 v80, v80, v82
	v_fmac_f32_e32 v15, 0xbf167918, v12
	s_delay_alu instid0(VALU_DEP_3) | instskip(NEXT) | instid1(VALU_DEP_3)
	v_dual_add_f32 v19, v57, v62 :: v_dual_fmac_f32 v20, 0xbf167918, v21
	v_dual_fmac_f32 v7, 0x3f167918, v21 :: v_dual_sub_f32 v82, v100, v102
	s_delay_alu instid0(VALU_DEP_3) | instskip(SKIP_1) | instid1(VALU_DEP_4)
	v_fmac_f32_e32 v15, 0x3e9e377a, v10
	v_sub_f32_e32 v72, v72, v74
	v_fmac_f32_e32 v20, 0x3e9e377a, v8
	s_delay_alu instid0(VALU_DEP_4)
	v_dual_fmac_f32 v7, 0x3e9e377a, v8 :: v_dual_add_f32 v8, v13, v58
	ds_store_2addr_b32 v112, v20, v7 offset0:6 offset1:9
	ds_store_2addr_b32 v112, v8, v15 offset1:3
	v_add_f32_e32 v7, v4, v57
	v_sub_f32_e32 v8, v44, v52
	v_dual_sub_f32 v58, v69, v58 :: v_dual_fmac_f32 v11, 0x3f737871, v21
	v_sub_f32_e32 v13, v62, v55
	s_delay_alu instid0(VALU_DEP_4)
	v_add_f32_e32 v7, v7, v47
	v_mul_u32_u24_e32 v15, 60, v22
	v_fma_f32 v4, -0.5, v19, v4
	v_fmac_f32_e32 v11, 0x3f167918, v12
	v_dual_fmamk_f32 v12, v8, 0xbf737871, v6 :: v_dual_add_f32 v9, v9, v13
	v_lshlrev_b32_e32 v13, 2, v30
	v_add_f32_e32 v7, v7, v55
	s_delay_alu instid0(VALU_DEP_4) | instskip(NEXT) | instid1(VALU_DEP_4)
	v_fmac_f32_e32 v11, 0x3e9e377a, v10
	v_fmac_f32_e32 v12, 0xbf167918, v14
	v_sub_f32_e32 v10, v47, v57
	v_add3_u32 v113, 0, v15, v13
	v_add_f32_e32 v7, v7, v62
	ds_store_b32 v112, v11 offset:48
	v_dual_fmac_f32 v12, 0x3e9e377a, v9 :: v_dual_sub_f32 v47, v47, v55
	v_sub_f32_e32 v79, v79, v81
	v_sub_f32_e32 v11, v55, v62
	v_add_f32_e32 v13, v5, v42
	ds_store_2addr_b32 v113, v7, v12 offset1:3
	v_dual_add_f32 v12, v41, v43 :: v_dual_fmamk_f32 v7, v14, 0x3f737871, v4
	v_add_f32_e32 v10, v10, v11
	v_dual_add_f32 v11, v42, v109 :: v_dual_fmac_f32 v4, 0xbf737871, v14
	s_delay_alu instid0(VALU_DEP_3) | instskip(SKIP_2) | instid1(VALU_DEP_4)
	v_fma_f32 v12, -0.5, v12, v5
	v_fmac_f32_e32 v6, 0x3f737871, v8
	v_fmac_f32_e32 v7, 0xbf167918, v8
	v_fmac_f32_e32 v5, -0.5, v11
	v_dual_sub_f32 v11, v40, v107 :: v_dual_fmac_f32 v4, 0x3f167918, v8
	v_dual_sub_f32 v8, v41, v42 :: v_dual_sub_f32 v15, v43, v109
	v_sub_f32_e32 v20, v39, v108
	s_delay_alu instid0(VALU_DEP_3)
	v_dual_fmamk_f32 v19, v11, 0x3f737871, v5 :: v_dual_sub_f32 v74, v77, v78
	v_fmac_f32_e32 v5, 0xbf737871, v11
	v_fmac_f32_e32 v6, 0x3f167918, v14
	;; [unrolled: 1-line block ×4, first 2 shown]
	v_dual_add_f32 v8, v8, v15 :: v_dual_fmac_f32 v19, 0xbf167918, v20
	s_delay_alu instid0(VALU_DEP_4)
	v_fmac_f32_e32 v6, 0x3e9e377a, v9
	v_sub_f32_e32 v71, v71, v73
	v_fmac_f32_e32 v5, 0x3f167918, v20
	ds_store_2addr_b32 v113, v7, v4 offset0:6 offset1:9
	v_fmac_f32_e32 v19, 0x3e9e377a, v8
	ds_store_b32 v113, v6 offset:48
	v_dual_sub_f32 v6, v42, v41 :: v_dual_fmac_f32 v5, 0x3e9e377a, v8
	v_dual_sub_f32 v7, v109, v43 :: v_dual_fmamk_f32 v8, v20, 0xbf737871, v12
	v_fmac_f32_e32 v12, 0x3f737871, v20
	v_lshlrev_b32_e32 v10, 2, v25
	v_mul_u32_u24_e32 v14, 60, v23
	s_delay_alu instid0(VALU_DEP_4)
	v_dual_add_f32 v9, v103, v104 :: v_dual_add_f32 v6, v6, v7
	v_dual_fmac_f32 v8, 0xbf167918, v11 :: v_dual_add_f32 v7, v2, v101
	v_sub_f32_e32 v68, v68, v70
	v_dual_fmac_f32 v12, 0x3f167918, v11 :: v_dual_add_f32 v11, v101, v105
	v_add_f32_e32 v4, v13, v41
	v_add3_u32 v114, 0, v14, v10
	v_sub_f32_e32 v10, v33, v34
	v_fma_f32 v116, -0.5, v9, v2
	v_add_f32_e32 v7, v7, v103
	v_fma_f32 v2, -0.5, v11, v2
	v_add_f32_e32 v4, v4, v43
	v_sub_f32_e32 v9, v101, v103
	v_sub_f32_e32 v13, v105, v104
	v_fmamk_f32 v117, v10, 0x3f737871, v116
	v_dual_add_f32 v7, v7, v104 :: v_dual_fmac_f32 v12, 0x3e9e377a, v6
	v_sub_f32_e32 v11, v103, v101
	v_sub_f32_e32 v101, v104, v105
	v_fmamk_f32 v103, v115, 0xbf737871, v2
	v_fmac_f32_e32 v2, 0x3f737871, v115
	v_add_f32_e32 v4, v4, v109
	v_fmac_f32_e32 v8, 0x3e9e377a, v6
	v_dual_add_f32 v118, v9, v13 :: v_dual_fmac_f32 v117, 0x3f167918, v115
	ds_store_2addr_b32 v114, v19, v5 offset0:6 offset1:9
	ds_store_2addr_b32 v114, v4, v8 offset1:3
	v_add_f32_e32 v119, v7, v105
	ds_store_b32 v114, v12 offset:48
	s_waitcnt lgkmcnt(0)
	s_barrier
	buffer_gl0_inv
	ds_load_2addr_b32 v[8:9], v85 offset1:125
	ds_load_2addr_b32 v[37:38], v86 offset0:110 offset1:235
	ds_load_2addr_b32 v[35:36], v89 offset0:92 offset1:217
	;; [unrolled: 1-line block ×10, first 2 shown]
	v_dual_add_f32 v101, v11, v101 :: v_dual_fmac_f32 v2, 0xbf167918, v10
	v_dual_sub_f32 v57, v57, v62 :: v_dual_sub_f32 v62, v52, v51
	v_fmac_f32_e32 v103, 0x3f167918, v10
	s_delay_alu instid0(VALU_DEP_3)
	v_dual_fmac_f32 v117, 0x3e9e377a, v118 :: v_dual_fmac_f32 v2, 0x3e9e377a, v101
	ds_load_2addr_b32 v[19:20], v98 offset0:98 offset1:223
	ds_load_2addr_b32 v[14:15], v99 offset0:80 offset1:205
	;; [unrolled: 1-line block ×3, first 2 shown]
	v_fmac_f32_e32 v103, 0x3e9e377a, v101
	v_fmac_f32_e32 v116, 0xbf737871, v10
	ds_load_2addr_b32 v[10:11], v97 offset0:44 offset1:169
	s_waitcnt lgkmcnt(0)
	s_barrier
	buffer_gl0_inv
	ds_store_2addr_b32 v111, v119, v117 offset1:3
	ds_store_2addr_b32 v111, v103, v2 offset0:6 offset1:9
	v_add_f32_e32 v2, v102, v84
	v_sub_f32_e32 v101, v83, v84
	v_dual_add_f32 v103, v100, v83 :: v_dual_add_f32 v104, v3, v100
	v_sub_f32_e32 v100, v102, v100
	s_delay_alu instid0(VALU_DEP_4) | instskip(NEXT) | instid1(VALU_DEP_4)
	v_fma_f32 v2, -0.5, v2, v3
	v_add_f32_e32 v81, v82, v101
	s_delay_alu instid0(VALU_DEP_4) | instskip(SKIP_3) | instid1(VALU_DEP_4)
	v_fmac_f32_e32 v3, -0.5, v103
	v_add_f32_e32 v101, v104, v102
	v_sub_f32_e32 v102, v84, v83
	v_fmamk_f32 v82, v80, 0x3f737871, v2
	v_dual_fmac_f32 v2, 0xbf737871, v80 :: v_dual_fmamk_f32 v103, v79, 0xbf737871, v3
	v_dual_fmac_f32 v3, 0x3f737871, v79 :: v_dual_sub_f32 v42, v42, v109
	s_delay_alu instid0(VALU_DEP_3) | instskip(NEXT) | instid1(VALU_DEP_3)
	v_fmac_f32_e32 v82, 0x3f167918, v79
	v_fmac_f32_e32 v2, 0xbf167918, v79
	v_dual_add_f32 v84, v101, v84 :: v_dual_add_f32 v79, v100, v102
	v_fmac_f32_e32 v103, 0x3f167918, v80
	s_delay_alu instid0(VALU_DEP_4) | instskip(NEXT) | instid1(VALU_DEP_4)
	v_fmac_f32_e32 v82, 0x3e9e377a, v81
	v_dual_fmac_f32 v2, 0x3e9e377a, v81 :: v_dual_add_f32 v81, v78, v76
	v_sub_f32_e32 v41, v41, v43
	v_dual_fmac_f32 v3, 0xbf167918, v80 :: v_dual_add_f32 v80, v84, v83
	v_fmac_f32_e32 v103, 0x3e9e377a, v79
	s_delay_alu instid0(VALU_DEP_4) | instskip(SKIP_1) | instid1(VALU_DEP_4)
	v_fma_f32 v81, -0.5, v81, v27
	v_add_f32_e32 v83, v27, v77
	v_fmac_f32_e32 v3, 0x3e9e377a, v79
	v_dual_sub_f32 v79, v75, v76 :: v_dual_add_f32 v84, v77, v75
	v_sub_f32_e32 v77, v78, v77
	v_dual_sub_f32 v69, v63, v64 :: v_dual_fmac_f32 v116, 0xbf167918, v115
	s_delay_alu instid0(VALU_DEP_3) | instskip(SKIP_3) | instid1(VALU_DEP_4)
	v_dual_add_f32 v73, v74, v79 :: v_dual_fmamk_f32 v74, v72, 0x3f737871, v81
	v_add_f32_e32 v79, v83, v78
	v_fma_f32 v27, -0.5, v84, v27
	v_dual_fmac_f32 v81, 0xbf737871, v72 :: v_dual_sub_f32 v78, v76, v75
	v_fmac_f32_e32 v74, 0x3f167918, v71
	s_delay_alu instid0(VALU_DEP_4) | instskip(NEXT) | instid1(VALU_DEP_4)
	v_add_f32_e32 v76, v79, v76
	v_fmamk_f32 v83, v71, 0xbf737871, v27
	v_fmac_f32_e32 v27, 0x3f737871, v71
	v_fmac_f32_e32 v81, 0xbf167918, v71
	v_dual_add_f32 v71, v77, v78 :: v_dual_fmac_f32 v74, 0x3e9e377a, v73
	s_delay_alu instid0(VALU_DEP_4) | instskip(NEXT) | instid1(VALU_DEP_4)
	v_fmac_f32_e32 v83, 0x3f167918, v72
	v_dual_fmac_f32 v27, 0xbf167918, v72 :: v_dual_add_f32 v72, v76, v75
	s_delay_alu instid0(VALU_DEP_4)
	v_fmac_f32_e32 v81, 0x3e9e377a, v73
	v_add_f32_e32 v73, v64, v61
	v_add_f32_e32 v75, v63, v56
	v_fmac_f32_e32 v83, 0x3e9e377a, v71
	v_fmac_f32_e32 v27, 0x3e9e377a, v71
	v_sub_f32_e32 v71, v56, v61
	v_fma_f32 v73, -0.5, v73, v28
	v_add_f32_e32 v76, v28, v63
	v_fmac_f32_e32 v28, -0.5, v75
	v_sub_f32_e32 v63, v64, v63
	s_delay_alu instid0(VALU_DEP_4) | instskip(NEXT) | instid1(VALU_DEP_4)
	v_dual_add_f32 v69, v69, v71 :: v_dual_fmamk_f32 v70, v58, 0x3f737871, v73
	v_add_f32_e32 v71, v76, v64
	s_delay_alu instid0(VALU_DEP_4) | instskip(SKIP_2) | instid1(VALU_DEP_4)
	v_dual_sub_f32 v64, v61, v56 :: v_dual_fmamk_f32 v75, v68, 0xbf737871, v28
	v_fmac_f32_e32 v28, 0x3f737871, v68
	v_fmac_f32_e32 v73, 0xbf737871, v58
	v_add_f32_e32 v61, v71, v61
	s_delay_alu instid0(VALU_DEP_4)
	v_add_f32_e32 v63, v63, v64
	v_fmac_f32_e32 v75, 0x3f167918, v58
	v_fmac_f32_e32 v28, 0xbf167918, v58
	v_add_f32_e32 v58, v48, v51
	v_add_f32_e32 v56, v61, v56
	v_sub_f32_e32 v61, v44, v48
	v_fmac_f32_e32 v75, 0x3e9e377a, v63
	v_fmac_f32_e32 v28, 0x3e9e377a, v63
	v_fma_f32 v58, -0.5, v58, v0
	v_add_f32_e32 v63, v0, v44
	v_dual_add_f32 v64, v44, v52 :: v_dual_add_f32 v55, v61, v62
	s_delay_alu instid0(VALU_DEP_3) | instskip(NEXT) | instid1(VALU_DEP_3)
	v_dual_sub_f32 v44, v48, v44 :: v_dual_fmamk_f32 v61, v57, 0x3f737871, v58
	v_add_f32_e32 v62, v63, v48
	s_delay_alu instid0(VALU_DEP_3) | instskip(SKIP_1) | instid1(VALU_DEP_4)
	v_fma_f32 v0, -0.5, v64, v0
	v_fmac_f32_e32 v58, 0xbf737871, v57
	v_dual_sub_f32 v48, v51, v52 :: v_dual_fmac_f32 v61, 0x3f167918, v47
	s_delay_alu instid0(VALU_DEP_4) | instskip(NEXT) | instid1(VALU_DEP_4)
	v_add_f32_e32 v51, v62, v51
	v_fmamk_f32 v63, v47, 0xbf737871, v0
	v_fmac_f32_e32 v0, 0x3f737871, v47
	v_fmac_f32_e32 v58, 0xbf167918, v47
	v_add_f32_e32 v44, v44, v48
	s_delay_alu instid0(VALU_DEP_4) | instskip(NEXT) | instid1(VALU_DEP_4)
	v_dual_add_f32 v48, v1, v39 :: v_dual_fmac_f32 v63, 0x3f167918, v57
	v_dual_fmac_f32 v0, 0xbf167918, v57 :: v_dual_add_f32 v47, v51, v52
	v_fmac_f32_e32 v61, 0x3e9e377a, v55
	v_fmac_f32_e32 v58, 0x3e9e377a, v55
	s_delay_alu instid0(VALU_DEP_4)
	v_add_f32_e32 v48, v48, v40
	v_add_f32_e32 v51, v40, v107
	v_add_f32_e32 v55, v39, v108
	v_fmac_f32_e32 v63, 0x3e9e377a, v44
	v_fmac_f32_e32 v0, 0x3e9e377a, v44
	v_sub_f32_e32 v44, v39, v40
	v_sub_f32_e32 v52, v108, v107
	v_add_f32_e32 v43, v48, v107
	v_fma_f32 v48, -0.5, v51, v1
	v_fmac_f32_e32 v1, -0.5, v55
	v_sub_f32_e32 v39, v40, v39
	v_add_f32_e32 v44, v44, v52
	v_sub_f32_e32 v40, v107, v108
	v_fmac_f32_e32 v116, 0x3e9e377a, v118
	v_fmamk_f32 v52, v41, 0xbf737871, v1
	v_fmac_f32_e32 v1, 0x3f737871, v41
	v_fmamk_f32 v51, v42, 0x3f737871, v48
	v_add_f32_e32 v39, v39, v40
	v_mul_lo_u16 v40, 0x89, v49
	v_fmac_f32_e32 v52, 0x3f167918, v42
	v_fmac_f32_e32 v1, 0xbf167918, v42
	ds_store_b32 v111, v116 offset:48
	ds_store_2addr_b32 v110, v80, v82 offset1:3
	ds_store_2addr_b32 v110, v103, v3 offset0:6 offset1:9
	ds_store_b32 v110, v2 offset:48
	ds_store_2addr_b32 v106, v72, v74 offset1:3
	v_fmac_f32_e32 v48, 0xbf737871, v42
	v_fmac_f32_e32 v52, 0x3e9e377a, v39
	;; [unrolled: 1-line block ×3, first 2 shown]
	v_lshrrev_b16 v39, 11, v40
	v_fmac_f32_e32 v73, 0xbf167918, v68
	v_fmac_f32_e32 v51, 0x3f167918, v41
	v_mul_lo_u16 v3, 0x89, v45
	v_fmac_f32_e32 v48, 0xbf167918, v41
	v_mul_lo_u16 v2, v39, 15
	v_fmac_f32_e32 v70, 0x3f167918, v68
	v_fmac_f32_e32 v73, 0x3e9e377a, v69
	v_add_f32_e32 v43, v43, v108
	v_fmac_f32_e32 v51, 0x3e9e377a, v44
	v_sub_nc_u16 v2, v18, v2
	v_lshrrev_b16 v108, 11, v3
	v_fmac_f32_e32 v48, 0x3e9e377a, v44
	v_fmac_f32_e32 v70, 0x3e9e377a, v69
	ds_store_2addr_b32 v106, v83, v27 offset0:6 offset1:9
	ds_store_b32 v106, v81 offset:48
	ds_store_2addr_b32 v112, v56, v70 offset1:3
	ds_store_2addr_b32 v112, v75, v28 offset0:6 offset1:9
	v_and_b32_e32 v40, 0xff, v2
	ds_store_b32 v112, v73 offset:48
	ds_store_2addr_b32 v113, v47, v61 offset1:3
	ds_store_2addr_b32 v113, v63, v0 offset0:6 offset1:9
	ds_store_b32 v113, v58 offset:48
	ds_store_2addr_b32 v114, v43, v51 offset1:3
	ds_store_2addr_b32 v114, v52, v1 offset0:6 offset1:9
	ds_store_b32 v114, v48 offset:48
	v_lshlrev_b32_e32 v0, 5, v40
	v_mul_lo_u16 v1, v108, 15
	v_mul_u32_u24_e32 v2, 0x8889, v46
	s_waitcnt lgkmcnt(0)
	s_barrier
	buffer_gl0_inv
	s_clause 0x1
	global_load_b128 v[41:44], v0, s[4:5] offset:96
	global_load_b128 v[55:58], v0, s[4:5] offset:112
	v_sub_nc_u16 v1, v59, v1
	v_lshrrev_b32_e32 v107, 19, v2
	s_delay_alu instid0(VALU_DEP_2) | instskip(SKIP_1) | instid1(VALU_DEP_3)
	v_and_b32_e32 v109, 0xff, v1
	v_mul_u32_u24_e32 v1, 0x8889, v50
	v_mul_lo_u16 v2, v107, 15
	s_delay_alu instid0(VALU_DEP_3) | instskip(NEXT) | instid1(VALU_DEP_3)
	v_lshlrev_b32_e32 v0, 5, v109
	v_lshrrev_b32_e32 v105, 19, v1
	s_delay_alu instid0(VALU_DEP_3)
	v_sub_nc_u16 v1, v60, v2
	s_clause 0x1
	global_load_b128 v[47:50], v0, s[4:5] offset:96
	global_load_b128 v[61:64], v0, s[4:5] offset:112
	v_and_b32_e32 v111, 0xffff, v1
	v_mul_lo_u16 v2, v105, 15
	s_delay_alu instid0(VALU_DEP_2) | instskip(NEXT) | instid1(VALU_DEP_2)
	v_lshlrev_b32_e32 v1, 5, v111
	v_sub_nc_u16 v0, v65, v2
	v_mul_u32_u24_e32 v2, 0x8889, v66
	s_clause 0x1
	global_load_b128 v[114:117], v1, s[4:5] offset:96
	global_load_b128 v[122:125], v1, s[4:5] offset:112
	v_and_b32_e32 v106, 0xffff, v0
	v_lshrrev_b32_e32 v104, 19, v2
	v_mul_u32_u24_e32 v2, 0x8889, v67
	s_delay_alu instid0(VALU_DEP_3) | instskip(NEXT) | instid1(VALU_DEP_3)
	v_lshlrev_b32_e32 v0, 5, v106
	v_mul_lo_u16 v3, v104, 15
	s_delay_alu instid0(VALU_DEP_3)
	v_lshrrev_b32_e32 v27, 19, v2
	s_clause 0x1
	global_load_b128 v[118:121], v0, s[4:5] offset:96
	global_load_b128 v[126:129], v0, s[4:5] offset:112
	v_sub_nc_u16 v1, v53, v3
	v_mul_lo_u16 v2, v27, 15
	s_delay_alu instid0(VALU_DEP_2) | instskip(NEXT) | instid1(VALU_DEP_2)
	v_and_b32_e32 v110, 0xffff, v1
	v_sub_nc_u16 v0, v54, v2
	s_delay_alu instid0(VALU_DEP_2) | instskip(NEXT) | instid1(VALU_DEP_2)
	v_lshlrev_b32_e32 v1, 5, v110
	v_and_b32_e32 v28, 0xffff, v0
	global_load_b128 v[130:133], v1, s[4:5] offset:96
	v_lshlrev_b32_e32 v0, 5, v28
	s_clause 0x2
	global_load_b128 v[134:137], v0, s[4:5] offset:96
	global_load_b128 v[138:141], v1, s[4:5] offset:112
	;; [unrolled: 1-line block ×3, first 2 shown]
	ds_load_2addr_b32 v[51:52], v86 offset0:110 offset1:235
	ds_load_2addr_b32 v[66:67], v89 offset0:92 offset1:217
	;; [unrolled: 1-line block ×4, first 2 shown]
	s_waitcnt vmcnt(11) lgkmcnt(2)
	v_mul_f32_e32 v112, v66, v44
	v_mul_f32_e32 v44, v35, v44
	;; [unrolled: 1-line block ×4, first 2 shown]
	s_delay_alu instid0(VALU_DEP_4) | instskip(NEXT) | instid1(VALU_DEP_4)
	v_fmac_f32_e32 v112, v35, v43
	v_fma_f32 v101, v66, v43, -v44
	ds_load_2addr_b32 v[43:44], v94 offset0:86 offset1:211
	v_fmac_f32_e32 v113, v37, v41
	v_fma_f32 v84, v51, v41, -v42
	s_waitcnt vmcnt(10)
	v_mul_f32_e32 v41, v33, v56
	s_waitcnt lgkmcnt(2)
	v_mul_f32_e32 v37, v68, v56
	s_waitcnt lgkmcnt(1)
	v_mul_f32_e32 v35, v70, v58
	v_fma_f32 v102, v68, v55, -v41
	ds_load_2addr_b32 v[41:42], v91 offset0:104 offset1:229
	v_fmac_f32_e32 v37, v33, v55
	v_mul_f32_e32 v33, v31, v58
	v_fmac_f32_e32 v35, v31, v57
	s_waitcnt vmcnt(9)
	v_mul_f32_e32 v82, v67, v50
	s_waitcnt vmcnt(8)
	v_dual_mul_f32 v100, v71, v64 :: v_dual_mul_f32 v83, v69, v62
	v_fma_f32 v103, v70, v57, -v33
	v_mul_f32_e32 v81, v52, v48
	v_fmac_f32_e32 v82, v36, v49
	s_delay_alu instid0(VALU_DEP_4) | instskip(SKIP_2) | instid1(VALU_DEP_1)
	v_fmac_f32_e32 v100, v32, v63
	s_waitcnt vmcnt(7) lgkmcnt(1)
	v_mul_f32_e32 v70, v43, v117
	v_fmac_f32_e32 v70, v29, v116
	s_waitcnt lgkmcnt(0)
	v_dual_mul_f32 v31, v38, v48 :: v_dual_mul_f32 v72, v41, v115
	s_delay_alu instid0(VALU_DEP_1) | instskip(SKIP_1) | instid1(VALU_DEP_3)
	v_fma_f32 v78, v52, v47, -v31
	v_mul_f32_e32 v31, v34, v62
	v_fmac_f32_e32 v72, v25, v114
	v_mul_f32_e32 v33, v36, v50
	v_mul_f32_e32 v36, v32, v64
	s_waitcnt vmcnt(5)
	v_mul_f32_e32 v58, v44, v121
	v_fma_f32 v76, v69, v61, -v31
	ds_load_2addr_b32 v[31:32], v93 offset0:50 offset1:175
	v_fma_f32 v80, v67, v49, -v33
	v_fma_f32 v77, v71, v63, -v36
	v_mul_f32_e32 v36, v29, v117
	v_fmac_f32_e32 v58, v30, v120
	s_delay_alu instid0(VALU_DEP_2) | instskip(SKIP_2) | instid1(VALU_DEP_1)
	v_fma_f32 v71, v43, v116, -v36
	v_fmac_f32_e32 v81, v38, v47
	v_mul_f32_e32 v38, v25, v115
	v_fma_f32 v69, v41, v114, -v38
	s_waitcnt lgkmcnt(0)
	v_mul_f32_e32 v79, v31, v125
	s_waitcnt vmcnt(4)
	s_delay_alu instid0(VALU_DEP_1) | instskip(SKIP_4) | instid1(VALU_DEP_2)
	v_dual_mul_f32 v68, v32, v129 :: v_dual_fmac_f32 v79, v21, v124
	v_fmac_f32_e32 v83, v34, v61
	ds_load_2addr_b32 v[33:34], v92 offset0:68 offset1:193
	v_mul_f32_e32 v61, v42, v119
	v_fmac_f32_e32 v68, v22, v128
	v_fmac_f32_e32 v61, v26, v118
	v_mul_f32_e32 v25, v26, v119
	v_mul_f32_e32 v26, v23, v123
	s_delay_alu instid0(VALU_DEP_2)
	v_fma_f32 v56, v42, v118, -v25
	v_mul_f32_e32 v25, v30, v121
	ds_load_2addr_b32 v[29:30], v99 offset0:80 offset1:205
	ds_load_2addr_b32 v[41:42], v98 offset0:98 offset1:223
	v_fma_f32 v62, v44, v120, -v25
	v_mul_f32_e32 v25, v21, v125
	s_waitcnt lgkmcnt(2)
	v_mul_f32_e32 v75, v33, v123
	v_fma_f32 v73, v33, v122, -v26
	s_delay_alu instid0(VALU_DEP_3) | instskip(NEXT) | instid1(VALU_DEP_3)
	v_fma_f32 v74, v31, v124, -v25
	v_fmac_f32_e32 v75, v23, v122
	v_mul_f32_e32 v23, v22, v129
	ds_load_2addr_b32 v[25:26], v96 offset0:62 offset1:187
	v_fma_f32 v64, v32, v128, -v23
	v_mul_f32_e32 v67, v34, v127
	s_waitcnt vmcnt(3)
	v_mul_f32_e32 v23, v14, v133
	s_waitcnt vmcnt(2) lgkmcnt(2)
	v_mul_f32_e32 v43, v30, v137
	s_waitcnt lgkmcnt(1)
	v_mul_f32_e32 v51, v41, v131
	v_dual_mul_f32 v44, v42, v135 :: v_dual_fmac_f32 v67, v24, v126
	v_mul_f32_e32 v21, v24, v127
	v_dual_mul_f32 v49, v29, v133 :: v_dual_mul_f32 v24, v19, v131
	s_delay_alu instid0(VALU_DEP_4) | instskip(SKIP_1) | instid1(VALU_DEP_4)
	v_fmac_f32_e32 v51, v19, v130
	v_mul_f32_e32 v19, v15, v137
	v_fma_f32 v63, v34, v126, -v21
	ds_load_2addr_b32 v[21:22], v97 offset0:44 offset1:169
	v_dual_fmac_f32 v49, v14, v132 :: v_dual_mul_f32 v14, v20, v135
	s_waitcnt vmcnt(1) lgkmcnt(1)
	v_mul_f32_e32 v57, v25, v139
	v_fma_f32 v48, v41, v130, -v24
	v_dual_fmac_f32 v43, v15, v136 :: v_dual_fmac_f32 v44, v20, v134
	v_fma_f32 v41, v42, v134, -v14
	v_mul_f32_e32 v14, v12, v139
	v_dual_fmac_f32 v57, v12, v138 :: v_dual_mul_f32 v12, v10, v141
	v_fma_f32 v42, v30, v136, -v19
	v_lshlrev_b32_e32 v19, 2, v40
	s_delay_alu instid0(VALU_DEP_4)
	v_fma_f32 v52, v25, v138, -v14
	v_and_b32_e32 v14, 0xffff, v39
	v_fma_f32 v50, v29, v132, -v23
	v_sub_f32_e32 v23, v83, v100
	v_sub_f32_e32 v25, v78, v77
	s_waitcnt lgkmcnt(0)
	v_mul_f32_e32 v66, v21, v141
	v_fma_f32 v55, v21, v140, -v12
	s_waitcnt vmcnt(0)
	v_mul_f32_e32 v47, v26, v1
	v_mul_f32_e32 v1, v13, v1
	;; [unrolled: 1-line block ×3, first 2 shown]
	v_fmac_f32_e32 v66, v10, v140
	s_delay_alu instid0(VALU_DEP_4) | instskip(NEXT) | instid1(VALU_DEP_4)
	v_dual_add_f32 v10, v112, v37 :: v_dual_fmac_f32 v47, v13, v0
	v_fma_f32 v115, v26, v0, -v1
	v_dual_add_f32 v1, v8, v113 :: v_dual_mul_f32 v0, v11, v3
	s_delay_alu instid0(VALU_DEP_3) | instskip(SKIP_2) | instid1(VALU_DEP_4)
	v_fma_f32 v3, -0.5, v10, v8
	v_sub_f32_e32 v12, v84, v103
	v_sub_f32_e32 v10, v113, v112
	v_add_f32_e32 v1, v1, v112
	v_sub_f32_e32 v13, v35, v37
	v_sub_f32_e32 v21, v101, v102
	v_fmamk_f32 v15, v12, 0xbf737871, v3
	v_fma_f32 v116, v22, v2, -v0
	v_add_f32_e32 v1, v1, v37
	v_add_f32_e32 v13, v10, v13
	v_mul_u32_u24_e32 v10, 0x12c, v14
	v_fmac_f32_e32 v15, 0xbf167918, v21
	s_delay_alu instid0(VALU_DEP_4) | instskip(SKIP_1) | instid1(VALU_DEP_4)
	v_dual_fmac_f32 v117, v11, v2 :: v_dual_add_f32 v0, v1, v35
	v_add_f32_e32 v1, v113, v35
	v_add3_u32 v114, 0, v10, v19
	s_delay_alu instid0(VALU_DEP_4)
	v_fmac_f32_e32 v15, 0x3e9e377a, v13
	v_sub_f32_e32 v2, v112, v113
	v_sub_f32_e32 v14, v37, v35
	v_fma_f32 v1, -0.5, v1, v8
	ds_load_2addr_b32 v[19:20], v85 offset1:125
	ds_load_2addr_b32 v[39:40], v90 offset0:122 offset1:247
	ds_load_2addr_b32 v[10:11], v95 offset0:116 offset1:241
	s_waitcnt lgkmcnt(0)
	s_barrier
	buffer_gl0_inv
	ds_store_2addr_b32 v114, v0, v15 offset1:15
	v_add_f32_e32 v0, v82, v83
	v_add_f32_e32 v2, v2, v14
	;; [unrolled: 1-line block ×3, first 2 shown]
	v_fmamk_f32 v14, v21, 0x3f737871, v1
	v_fmac_f32_e32 v1, 0xbf737871, v21
	v_fma_f32 v0, -0.5, v0, v9
	v_add_f32_e32 v15, v9, v81
	v_fmac_f32_e32 v9, -0.5, v8
	v_sub_f32_e32 v8, v80, v76
	v_fmac_f32_e32 v14, 0xbf167918, v12
	v_fmac_f32_e32 v1, 0x3f167918, v12
	v_dual_fmac_f32 v3, 0x3f737871, v12 :: v_dual_sub_f32 v22, v82, v81
	s_delay_alu instid0(VALU_DEP_4)
	v_fmamk_f32 v24, v8, 0x3f737871, v9
	v_fmac_f32_e32 v9, 0xbf737871, v8
	v_fmac_f32_e32 v14, 0x3e9e377a, v2
	;; [unrolled: 1-line block ×3, first 2 shown]
	v_and_b32_e32 v2, 0xffff, v108
	v_dual_fmac_f32 v3, 0x3f167918, v21 :: v_dual_add_f32 v12, v22, v23
	v_fmac_f32_e32 v24, 0xbf167918, v25
	v_fmac_f32_e32 v9, 0x3f167918, v25
	v_lshlrev_b32_e32 v23, 2, v109
	v_mul_u32_u24_e32 v2, 0x12c, v2
	s_delay_alu instid0(VALU_DEP_4) | instskip(NEXT) | instid1(VALU_DEP_4)
	v_dual_fmac_f32 v3, 0x3e9e377a, v13 :: v_dual_fmac_f32 v24, 0x3e9e377a, v12
	v_fmac_f32_e32 v9, 0x3e9e377a, v12
	v_add_f32_e32 v15, v15, v82
	s_delay_alu instid0(VALU_DEP_4)
	v_add3_u32 v108, 0, v2, v23
	v_dual_sub_f32 v21, v100, v83 :: v_dual_fmamk_f32 v22, v25, 0xbf737871, v0
	ds_store_2addr_b32 v114, v14, v1 offset0:30 offset1:45
	ds_store_b32 v114, v3 offset:240
	ds_store_2addr_b32 v108, v24, v9 offset0:30 offset1:45
	v_dual_sub_f32 v14, v71, v73 :: v_dual_sub_f32 v13, v81, v82
	v_fmac_f32_e32 v0, 0x3f737871, v25
	v_dual_fmac_f32 v22, 0xbf167918, v8 :: v_dual_sub_f32 v109, v112, v37
	v_add_f32_e32 v15, v15, v83
	s_delay_alu instid0(VALU_DEP_3) | instskip(SKIP_2) | instid1(VALU_DEP_4)
	v_dual_add_f32 v13, v13, v21 :: v_dual_fmac_f32 v0, 0x3f167918, v8
	v_sub_f32_e32 v3, v79, v75
	v_mul_u32_u24_e32 v12, 0x12c, v107
	v_add_f32_e32 v2, v15, v100
	s_delay_alu instid0(VALU_DEP_4)
	v_fmac_f32_e32 v22, 0x3e9e377a, v13
	v_dual_fmac_f32 v0, 0x3e9e377a, v13 :: v_dual_add_f32 v15, v72, v79
	v_dual_add_f32 v8, v6, v72 :: v_dual_sub_f32 v9, v69, v74
	ds_store_2addr_b32 v108, v2, v22 offset1:15
	v_sub_f32_e32 v2, v72, v70
	ds_store_b32 v108, v0 offset:240
	v_fma_f32 v0, -0.5, v15, v6
	v_dual_add_f32 v8, v8, v70 :: v_dual_add_f32 v15, v58, v67
	v_add_f32_e32 v2, v2, v3
	v_dual_sub_f32 v24, v56, v64 :: v_dual_lshlrev_b32 v3, 2, v111
	s_delay_alu instid0(VALU_DEP_3) | instskip(NEXT) | instid1(VALU_DEP_2)
	v_fma_f32 v15, -0.5, v15, v7
	v_add3_u32 v107, 0, v12, v3
	v_fmamk_f32 v12, v14, 0x3f737871, v0
	v_fmac_f32_e32 v0, 0xbf737871, v14
	s_delay_alu instid0(VALU_DEP_2) | instskip(NEXT) | instid1(VALU_DEP_2)
	v_fmac_f32_e32 v12, 0xbf167918, v9
	v_dual_fmac_f32 v0, 0x3f167918, v9 :: v_dual_add_f32 v1, v70, v75
	v_dual_add_f32 v8, v8, v75 :: v_dual_add_f32 v21, v7, v61
	s_delay_alu instid0(VALU_DEP_2) | instskip(NEXT) | instid1(VALU_DEP_2)
	v_fma_f32 v1, -0.5, v1, v6
	v_add_f32_e32 v3, v8, v79
	v_sub_f32_e32 v8, v75, v79
	v_sub_f32_e32 v6, v70, v72
	s_delay_alu instid0(VALU_DEP_4) | instskip(SKIP_2) | instid1(VALU_DEP_4)
	v_dual_sub_f32 v82, v82, v83 :: v_dual_fmamk_f32 v13, v9, 0xbf737871, v1
	v_fmac_f32_e32 v1, 0x3f737871, v9
	v_sub_f32_e32 v9, v58, v61
	v_add_f32_e32 v6, v6, v8
	s_delay_alu instid0(VALU_DEP_4) | instskip(NEXT) | instid1(VALU_DEP_4)
	v_dual_add_f32 v8, v61, v68 :: v_dual_fmac_f32 v13, 0xbf167918, v14
	v_dual_fmac_f32 v1, 0x3f167918, v14 :: v_dual_sub_f32 v70, v70, v75
	s_delay_alu instid0(VALU_DEP_3) | instskip(SKIP_1) | instid1(VALU_DEP_4)
	v_fmac_f32_e32 v12, 0x3e9e377a, v6
	v_fmac_f32_e32 v0, 0x3e9e377a, v6
	;; [unrolled: 1-line block ×3, first 2 shown]
	v_dual_fmac_f32 v7, -0.5, v8 :: v_dual_sub_f32 v8, v62, v63
	ds_store_2addr_b32 v107, v3, v13 offset1:15
	ds_store_2addr_b32 v107, v12, v0 offset0:30 offset1:45
	v_fmamk_f32 v12, v24, 0xbf737871, v15
	v_fmamk_f32 v23, v8, 0x3f737871, v7
	v_fmac_f32_e32 v7, 0xbf737871, v8
	v_fmac_f32_e32 v1, 0x3e9e377a, v2
	v_lshlrev_b32_e32 v0, 2, v106
	v_fmac_f32_e32 v12, 0xbf167918, v8
	v_sub_f32_e32 v22, v67, v68
	v_fmac_f32_e32 v23, 0xbf167918, v24
	v_dual_fmac_f32 v7, 0x3f167918, v24 :: v_dual_sub_f32 v72, v72, v79
	v_mul_u32_u24_e32 v2, 0x12c, v105
	s_delay_alu instid0(VALU_DEP_4)
	v_add_f32_e32 v6, v9, v22
	v_add_f32_e32 v9, v21, v58
	;; [unrolled: 1-line block ×3, first 2 shown]
	v_sub_f32_e32 v3, v61, v58
	v_add3_u32 v105, 0, v2, v0
	v_fmac_f32_e32 v23, 0x3e9e377a, v6
	v_dual_fmac_f32 v7, 0x3e9e377a, v6 :: v_dual_sub_f32 v6, v68, v67
	ds_store_b32 v107, v1 offset:240
	v_add_f32_e32 v1, v9, v67
	v_fmac_f32_e32 v15, 0x3f737871, v24
	ds_store_2addr_b32 v105, v23, v7 offset0:30 offset1:45
	v_add_f32_e32 v0, v3, v6
	v_sub_f32_e32 v106, v113, v35
	v_add_f32_e32 v1, v1, v68
	v_dual_fmac_f32 v15, 0x3f167918, v8 :: v_dual_sub_f32 v6, v49, v51
	s_delay_alu instid0(VALU_DEP_4)
	v_dual_fmac_f32 v12, 0x3e9e377a, v0 :: v_dual_sub_f32 v7, v57, v66
	v_sub_f32_e32 v58, v58, v67
	v_dual_sub_f32 v2, v84, v101 :: v_dual_sub_f32 v3, v103, v102
	ds_store_2addr_b32 v105, v1, v12 offset1:15
	v_add_f32_e32 v1, v51, v66
	v_dual_fmac_f32 v15, 0x3e9e377a, v0 :: v_dual_add_f32 v0, v6, v7
	v_dual_add_f32 v8, v49, v57 :: v_dual_sub_f32 v9, v50, v52
	s_delay_alu instid0(VALU_DEP_3) | instskip(SKIP_2) | instid1(VALU_DEP_4)
	v_fma_f32 v1, -0.5, v1, v4
	v_dual_sub_f32 v6, v48, v55 :: v_dual_sub_f32 v61, v61, v68
	v_add_f32_e32 v111, v2, v3
	v_fma_f32 v2, -0.5, v8, v4
	v_dual_add_f32 v4, v4, v51 :: v_dual_sub_f32 v7, v51, v49
	v_sub_f32_e32 v8, v66, v57
	v_dual_sub_f32 v68, v56, v62 :: v_dual_fmamk_f32 v3, v9, 0x3f737871, v1
	s_delay_alu instid0(VALU_DEP_4) | instskip(NEXT) | instid1(VALU_DEP_3)
	v_dual_fmac_f32 v1, 0xbf737871, v9 :: v_dual_fmamk_f32 v12, v6, 0xbf737871, v2
	v_dual_add_f32 v4, v4, v49 :: v_dual_add_f32 v7, v7, v8
	v_lshlrev_b32_e32 v8, 2, v110
	v_mul_u32_u24_e32 v13, 0x12c, v104
	v_fmac_f32_e32 v3, 0xbf167918, v6
	s_delay_alu instid0(VALU_DEP_4)
	v_dual_fmac_f32 v1, 0x3f167918, v6 :: v_dual_add_f32 v14, v4, v57
	v_fmac_f32_e32 v12, 0xbf167918, v9
	v_fmac_f32_e32 v2, 0x3f737871, v6
	v_add3_u32 v4, 0, v13, v8
	v_fmac_f32_e32 v3, 0x3e9e377a, v0
	v_dual_fmac_f32 v1, 0x3e9e377a, v0 :: v_dual_add_f32 v6, v14, v66
	v_fmac_f32_e32 v12, 0x3e9e377a, v7
	v_fmac_f32_e32 v2, 0x3f167918, v9
	ds_store_b32 v105, v15 offset:240
	ds_store_2addr_b32 v4, v6, v12 offset1:15
	v_add_f32_e32 v0, v43, v47
	v_sub_f32_e32 v6, v44, v43
	v_sub_f32_e32 v8, v117, v47
	ds_store_2addr_b32 v4, v3, v1 offset0:30 offset1:45
	v_add_f32_e32 v1, v44, v117
	v_fma_f32 v0, -0.5, v0, v5
	v_sub_f32_e32 v3, v41, v116
	v_add_f32_e32 v6, v6, v8
	s_delay_alu instid0(VALU_DEP_4) | instskip(SKIP_1) | instid1(VALU_DEP_4)
	v_dual_add_f32 v8, v5, v44 :: v_dual_fmac_f32 v5, -0.5, v1
	v_sub_f32_e32 v1, v42, v115
	v_fmamk_f32 v9, v3, 0xbf737871, v0
	v_dual_fmac_f32 v0, 0x3f737871, v3 :: v_dual_sub_f32 v49, v49, v57
	v_sub_f32_e32 v12, v43, v44
	s_delay_alu instid0(VALU_DEP_4)
	v_fmamk_f32 v14, v1, 0x3f737871, v5
	v_fmac_f32_e32 v5, 0xbf737871, v1
	v_sub_f32_e32 v13, v47, v117
	v_fmac_f32_e32 v9, 0xbf167918, v1
	v_fmac_f32_e32 v0, 0x3f167918, v1
	;; [unrolled: 1-line block ×4, first 2 shown]
	v_dual_add_f32 v3, v101, v102 :: v_dual_fmac_f32 v2, 0x3e9e377a, v7
	v_lshlrev_b32_e32 v7, 2, v28
	v_add_f32_e32 v1, v12, v13
	v_fmac_f32_e32 v9, 0x3e9e377a, v6
	s_delay_alu instid0(VALU_DEP_4)
	v_fma_f32 v104, -0.5, v3, v19
	v_add_f32_e32 v3, v8, v43
	v_mul_u32_u24_e32 v8, 0x12c, v27
	v_fmac_f32_e32 v0, 0x3e9e377a, v6
	v_add_f32_e32 v6, v19, v84
	v_sub_f32_e32 v51, v51, v66
	v_add_f32_e32 v3, v3, v47
	v_add3_u32 v112, 0, v8, v7
	v_fmac_f32_e32 v14, 0x3e9e377a, v1
	v_fmac_f32_e32 v5, 0x3e9e377a, v1
	v_add_f32_e32 v6, v6, v101
	v_add_f32_e32 v3, v3, v117
	ds_store_b32 v4, v2 offset:240
	ds_store_2addr_b32 v112, v3, v9 offset1:15
	ds_store_2addr_b32 v112, v14, v5 offset0:30 offset1:45
	ds_store_b32 v112, v0 offset:240
	v_dual_add_f32 v5, v84, v103 :: v_dual_add_f32 v6, v6, v102
	v_dual_sub_f32 v44, v44, v117 :: v_dual_sub_f32 v43, v43, v47
	s_waitcnt lgkmcnt(0)
	s_delay_alu instid0(VALU_DEP_2) | instskip(NEXT) | instid1(VALU_DEP_3)
	v_fma_f32 v5, -0.5, v5, v19
	v_add_f32_e32 v113, v6, v103
	v_dual_sub_f32 v19, v101, v84 :: v_dual_sub_f32 v84, v102, v103
	s_delay_alu instid0(VALU_DEP_3) | instskip(SKIP_2) | instid1(VALU_DEP_4)
	v_dual_add_f32 v102, v78, v77 :: v_dual_fmamk_f32 v101, v109, 0xbf737871, v5
	v_fmac_f32_e32 v5, 0x3f737871, v109
	v_add_f32_e32 v103, v20, v78
	v_add_f32_e32 v19, v19, v84
	s_delay_alu instid0(VALU_DEP_4) | instskip(NEXT) | instid1(VALU_DEP_4)
	v_dual_add_f32 v84, v80, v76 :: v_dual_fmac_f32 v101, 0x3f167918, v106
	v_fmac_f32_e32 v5, 0xbf167918, v106
	s_barrier
	buffer_gl0_inv
	v_fma_f32 v84, -0.5, v84, v20
	v_fmac_f32_e32 v101, 0x3e9e377a, v19
	v_fmac_f32_e32 v5, 0x3e9e377a, v19
	v_sub_f32_e32 v19, v81, v100
	v_sub_f32_e32 v81, v78, v80
	;; [unrolled: 1-line block ×3, first 2 shown]
	v_fmac_f32_e32 v20, -0.5, v102
	s_delay_alu instid0(VALU_DEP_4) | instskip(NEXT) | instid1(VALU_DEP_3)
	v_dual_sub_f32 v78, v80, v78 :: v_dual_fmamk_f32 v83, v19, 0x3f737871, v84
	v_dual_fmac_f32 v84, 0xbf737871, v19 :: v_dual_add_f32 v81, v81, v100
	v_add_f32_e32 v100, v103, v80
	v_sub_f32_e32 v80, v76, v77
	v_fmamk_f32 v102, v82, 0xbf737871, v20
	v_fmac_f32_e32 v20, 0x3f737871, v82
	ds_load_2addr_b32 v[0:1], v85 offset1:125
	ds_load_2addr_b32 v[2:3], v90 offset0:122 offset1:247
	ds_load_2addr_b32 v[37:38], v86 offset0:110 offset1:235
	;; [unrolled: 1-line block ×10, first 2 shown]
	v_add_f32_e32 v76, v100, v76
	v_add_f32_e32 v78, v78, v80
	v_fmac_f32_e32 v102, 0x3f167918, v19
	v_fmac_f32_e32 v20, 0xbf167918, v19
	s_delay_alu instid0(VALU_DEP_4) | instskip(SKIP_1) | instid1(VALU_DEP_4)
	v_dual_add_f32 v80, v69, v74 :: v_dual_add_f32 v19, v76, v77
	v_add_f32_e32 v76, v71, v73
	v_fmac_f32_e32 v102, 0x3e9e377a, v78
	s_delay_alu instid0(VALU_DEP_4) | instskip(SKIP_1) | instid1(VALU_DEP_4)
	v_dual_fmac_f32 v20, 0x3e9e377a, v78 :: v_dual_sub_f32 v77, v69, v71
	v_sub_f32_e32 v78, v74, v73
	v_fma_f32 v76, -0.5, v76, v39
	v_fma_f32 v39, -0.5, v80, v39
	v_sub_f32_e32 v69, v71, v69
	ds_load_2addr_b32 v[31:32], v98 offset0:98 offset1:223
	ds_load_2addr_b32 v[25:26], v99 offset0:80 offset1:205
	;; [unrolled: 1-line block ×4, first 2 shown]
	v_dual_add_f32 v75, v77, v78 :: v_dual_add_f32 v78, v79, v71
	v_sub_f32_e32 v71, v73, v74
	v_fmamk_f32 v79, v70, 0xbf737871, v39
	v_fmac_f32_e32 v39, 0x3f737871, v70
	v_fmamk_f32 v77, v72, 0x3f737871, v76
	v_dual_fmac_f32 v76, 0xbf737871, v72 :: v_dual_add_f32 v73, v78, v73
	v_add_f32_e32 v69, v69, v71
	v_fmac_f32_e32 v79, 0x3f167918, v72
	v_fmac_f32_e32 v39, 0xbf167918, v72
	v_dual_add_f32 v71, v62, v63 :: v_dual_add_f32 v72, v56, v64
	v_fmac_f32_e32 v77, 0x3f167918, v70
	v_fmac_f32_e32 v76, 0xbf167918, v70
	v_dual_add_f32 v70, v73, v74 :: v_dual_fmac_f32 v79, 0x3e9e377a, v69
	v_fmac_f32_e32 v39, 0x3e9e377a, v69
	v_sub_f32_e32 v69, v64, v63
	v_fma_f32 v71, -0.5, v71, v40
	v_add_f32_e32 v73, v40, v56
	v_fmac_f32_e32 v40, -0.5, v72
	s_delay_alu instid0(VALU_DEP_4) | instskip(NEXT) | instid1(VALU_DEP_4)
	v_dual_sub_f32 v56, v62, v56 :: v_dual_add_f32 v67, v68, v69
	v_fmamk_f32 v68, v61, 0x3f737871, v71
	s_delay_alu instid0(VALU_DEP_4) | instskip(NEXT) | instid1(VALU_DEP_4)
	v_dual_add_f32 v69, v73, v62 :: v_dual_sub_f32 v62, v63, v64
	v_fmamk_f32 v72, v58, 0xbf737871, v40
	v_fmac_f32_e32 v40, 0x3f737871, v58
	v_fmac_f32_e32 v71, 0xbf737871, v61
	s_delay_alu instid0(VALU_DEP_4) | instskip(NEXT) | instid1(VALU_DEP_4)
	v_dual_add_f32 v63, v69, v63 :: v_dual_add_f32 v56, v56, v62
	v_fmac_f32_e32 v72, 0x3f167918, v61
	s_delay_alu instid0(VALU_DEP_4) | instskip(SKIP_1) | instid1(VALU_DEP_4)
	v_fmac_f32_e32 v40, 0xbf167918, v61
	v_fmac_f32_e32 v68, 0x3f167918, v58
	v_dual_fmac_f32 v71, 0xbf167918, v58 :: v_dual_add_f32 v58, v63, v64
	s_delay_alu instid0(VALU_DEP_4)
	v_fmac_f32_e32 v72, 0x3e9e377a, v56
	v_add_f32_e32 v61, v50, v52
	v_fmac_f32_e32 v40, 0x3e9e377a, v56
	v_sub_f32_e32 v56, v48, v50
	v_sub_f32_e32 v62, v55, v52
	v_dual_add_f32 v63, v10, v48 :: v_dual_add_f32 v64, v48, v55
	v_fma_f32 v61, -0.5, v61, v10
	v_sub_f32_e32 v48, v50, v48
	s_delay_alu instid0(VALU_DEP_4) | instskip(NEXT) | instid1(VALU_DEP_4)
	v_add_f32_e32 v56, v56, v62
	v_add_f32_e32 v62, v63, v50
	v_fma_f32 v10, -0.5, v64, v10
	v_fmamk_f32 v57, v51, 0x3f737871, v61
	v_fmac_f32_e32 v61, 0xbf737871, v51
	v_sub_f32_e32 v50, v52, v55
	s_delay_alu instid0(VALU_DEP_4) | instskip(SKIP_2) | instid1(VALU_DEP_4)
	v_dual_add_f32 v52, v62, v52 :: v_dual_fmamk_f32 v63, v49, 0xbf737871, v10
	v_fmac_f32_e32 v10, 0x3f737871, v49
	v_fmac_f32_e32 v57, 0x3f167918, v49
	v_dual_fmac_f32 v61, 0xbf167918, v49 :: v_dual_add_f32 v48, v48, v50
	s_delay_alu instid0(VALU_DEP_4) | instskip(NEXT) | instid1(VALU_DEP_4)
	v_fmac_f32_e32 v63, 0x3f167918, v51
	v_fmac_f32_e32 v10, 0xbf167918, v51
	v_add_f32_e32 v49, v52, v55
	v_add_f32_e32 v50, v42, v115
	;; [unrolled: 1-line block ×3, first 2 shown]
	v_fmac_f32_e32 v63, 0x3e9e377a, v48
	v_fmac_f32_e32 v10, 0x3e9e377a, v48
	v_dual_sub_f32 v48, v41, v42 :: v_dual_sub_f32 v51, v116, v115
	v_fma_f32 v50, -0.5, v50, v11
	v_add_f32_e32 v55, v11, v41
	v_dual_fmac_f32 v11, -0.5, v52 :: v_dual_fmamk_f32 v110, v106, 0x3f737871, v104
	s_delay_alu instid0(VALU_DEP_4) | instskip(SKIP_1) | instid1(VALU_DEP_4)
	v_add_f32_e32 v47, v48, v51
	v_sub_f32_e32 v41, v42, v41
	v_add_f32_e32 v51, v55, v42
	v_sub_f32_e32 v42, v115, v116
	v_fmamk_f32 v52, v43, 0xbf737871, v11
	v_fmac_f32_e32 v11, 0x3f737871, v43
	v_fmac_f32_e32 v104, 0xbf737871, v106
	v_fmamk_f32 v48, v44, 0x3f737871, v50
	v_fmac_f32_e32 v50, 0xbf737871, v44
	v_dual_fmac_f32 v110, 0x3f167918, v109 :: v_dual_add_f32 v41, v41, v42
	v_fmac_f32_e32 v52, 0x3f167918, v44
	v_dual_fmac_f32 v11, 0xbf167918, v44 :: v_dual_fmac_f32 v104, 0xbf167918, v109
	v_fmac_f32_e32 v83, 0x3f167918, v82
	v_fmac_f32_e32 v50, 0xbf167918, v43
	;; [unrolled: 1-line block ×6, first 2 shown]
	v_add_nc_u32_e32 v41, 0xffffffb5, v18
	v_fmac_f32_e32 v104, 0x3e9e377a, v111
	v_dual_fmac_f32 v50, 0x3e9e377a, v47 :: v_dual_fmac_f32 v83, 0x3e9e377a, v81
	s_waitcnt lgkmcnt(0)
	s_barrier
	buffer_gl0_inv
	ds_store_2addr_b32 v114, v113, v110 offset1:15
	v_fmac_f32_e32 v84, 0x3e9e377a, v81
	v_fmac_f32_e32 v68, 0x3e9e377a, v67
	;; [unrolled: 1-line block ×3, first 2 shown]
	ds_store_2addr_b32 v114, v101, v5 offset0:30 offset1:45
	ds_store_b32 v114, v104 offset:240
	ds_store_2addr_b32 v108, v19, v83 offset1:15
	ds_store_2addr_b32 v108, v102, v20 offset0:30 offset1:45
	v_cndmask_b32_e64 v42, v41, v18, s0
	v_mul_u32_u24_e32 v5, 0xb4e9, v46
	v_fmac_f32_e32 v77, 0x3e9e377a, v75
	v_fmac_f32_e32 v57, 0x3e9e377a, v56
	;; [unrolled: 1-line block ×3, first 2 shown]
	v_add_f32_e32 v51, v51, v115
	v_dual_fmac_f32 v76, 0x3e9e377a, v75 :: v_dual_fmac_f32 v61, 0x3e9e377a, v56
	ds_store_b32 v108, v84 offset:240
	ds_store_2addr_b32 v107, v70, v77 offset1:15
	ds_store_2addr_b32 v107, v79, v39 offset0:30 offset1:45
	ds_store_b32 v107, v76 offset:240
	v_mul_i32_i24_e32 v19, 9, v42
	v_mov_b32_e32 v20, 0
	ds_store_2addr_b32 v105, v58, v68 offset1:15
	ds_store_2addr_b32 v105, v72, v40 offset0:30 offset1:45
	ds_store_b32 v105, v71 offset:240
	ds_store_2addr_b32 v4, v49, v57 offset1:15
	ds_store_2addr_b32 v4, v63, v10 offset0:30 offset1:45
	v_lshrrev_b32_e32 v10, 16, v5
	v_dual_add_f32 v43, v51, v116 :: v_dual_fmac_f32 v48, 0x3e9e377a, v47
	v_lshlrev_b64 v[39:40], 3, v[19:20]
	ds_store_b32 v4, v61 offset:240
	ds_store_2addr_b32 v112, v43, v48 offset1:15
	ds_store_2addr_b32 v112, v52, v11 offset0:30 offset1:45
	v_mul_lo_u16 v11, 0xdb, v45
	v_sub_nc_u16 v19, v60, v10
	v_add_co_u32 v4, s0, s4, v39
	s_delay_alu instid0(VALU_DEP_1) | instskip(NEXT) | instid1(VALU_DEP_4)
	v_add_co_ci_u32_e64 v5, s0, s5, v40, s0
	v_lshrrev_b16 v43, 14, v11
	s_delay_alu instid0(VALU_DEP_4)
	v_lshrrev_b16 v11, 1, v19
	ds_store_b32 v112, v50 offset:240
	s_waitcnt lgkmcnt(0)
	s_barrier
	v_mul_lo_u16 v19, 0x4b, v43
	v_add_nc_u16 v10, v11, v10
	buffer_gl0_inv
	s_clause 0x2
	global_load_b128 v[45:48], v[4:5], off offset:576
	global_load_b128 v[49:52], v[4:5], off offset:592
	;; [unrolled: 1-line block ×3, first 2 shown]
	v_lshrrev_b16 v40, 6, v10
	v_sub_nc_u16 v10, v59, v19
	v_cmp_lt_u32_e64 s0, 0x4a, v18
	v_lshlrev_b32_e32 v42, 2, v42
	s_delay_alu instid0(VALU_DEP_4) | instskip(NEXT) | instid1(VALU_DEP_4)
	v_mul_lo_u16 v11, 0x4b, v40
	v_and_b32_e32 v44, 0xff, v10
	s_delay_alu instid0(VALU_DEP_2) | instskip(NEXT) | instid1(VALU_DEP_2)
	v_sub_nc_u16 v10, v60, v11
	v_mul_u32_u24_e32 v11, 9, v44
	s_delay_alu instid0(VALU_DEP_2) | instskip(NEXT) | instid1(VALU_DEP_2)
	v_and_b32_e32 v39, 0xffff, v10
	v_lshlrev_b32_e32 v10, 3, v11
	s_delay_alu instid0(VALU_DEP_2)
	v_mul_u32_u24_e32 v11, 9, v39
	global_load_b128 v[74:77], v10, s[4:5] offset:576
	v_lshlrev_b32_e32 v11, 3, v11
	s_clause 0xa
	global_load_b128 v[78:81], v11, s[4:5] offset:576
	global_load_b128 v[100:103], v10, s[4:5] offset:592
	global_load_b128 v[104:107], v10, s[4:5] offset:608
	global_load_b128 v[108:111], v11, s[4:5] offset:592
	global_load_b128 v[112:115], v11, s[4:5] offset:608
	global_load_b128 v[116:119], v[4:5], off offset:624
	global_load_b128 v[120:123], v10, s[4:5] offset:624
	global_load_b128 v[124:127], v11, s[4:5] offset:624
	global_load_b64 v[82:83], v[4:5], off offset:640
	global_load_b64 v[128:129], v10, s[4:5] offset:640
	global_load_b64 v[130:131], v11, s[4:5] offset:640
	ds_load_2addr_b32 v[4:5], v90 offset0:122 offset1:247
	ds_load_2addr_b32 v[10:11], v86 offset0:110 offset1:235
	;; [unrolled: 1-line block ×7, first 2 shown]
	s_waitcnt vmcnt(14) lgkmcnt(6)
	v_mul_f32_e32 v61, v5, v46
	v_mul_f32_e32 v19, v3, v46
	s_waitcnt lgkmcnt(5)
	v_mul_f32_e32 v41, v10, v48
	s_delay_alu instid0(VALU_DEP_3) | instskip(NEXT) | instid1(VALU_DEP_3)
	v_dual_mul_f32 v46, v37, v48 :: v_dual_fmac_f32 v61, v3, v45
	v_fma_f32 v63, v5, v45, -v19
	s_waitcnt vmcnt(13)
	v_mul_f32_e32 v3, v34, v50
	v_fmac_f32_e32 v41, v37, v47
	s_waitcnt lgkmcnt(3)
	v_mul_f32_e32 v37, v68, v52
	v_fma_f32 v67, v10, v47, -v46
	s_waitcnt vmcnt(12) lgkmcnt(2)
	v_mul_f32_e32 v46, v133, v71
	ds_load_2addr_b32 v[47:48], v98 offset0:98 offset1:223
	v_dual_fmac_f32 v37, v29, v51 :: v_dual_fmac_f32 v46, v24, v70
	s_waitcnt vmcnt(10)
	v_mul_f32_e32 v62, v55, v81
	s_waitcnt lgkmcnt(1)
	v_dual_mul_f32 v66, v11, v77 :: v_dual_mul_f32 v57, v136, v75
	s_waitcnt vmcnt(7)
	s_delay_alu instid0(VALU_DEP_2) | instskip(NEXT) | instid1(VALU_DEP_2)
	v_dual_mul_f32 v19, v32, v109 :: v_dual_fmac_f32 v62, v33, v80
	v_fmac_f32_e32 v66, v38, v76
	v_mul_f32_e32 v5, v29, v52
	v_fmac_f32_e32 v57, v35, v74
	v_mul_f32_e32 v45, v56, v50
	v_dual_mul_f32 v29, v134, v73 :: v_dual_mul_f32 v52, v137, v79
	s_delay_alu instid0(VALU_DEP_2)
	v_fmac_f32_e32 v45, v34, v49
	v_fma_f32 v34, v56, v49, -v3
	v_mul_f32_e32 v3, v24, v71
	v_fma_f32 v71, v68, v51, -v5
	v_mul_f32_e32 v5, v27, v73
	ds_load_2addr_b32 v[49:50], v99 offset0:80 offset1:205
	v_fmac_f32_e32 v52, v36, v78
	v_fma_f32 v24, v133, v70, -v3
	v_mul_f32_e32 v3, v38, v77
	v_fma_f32 v73, v134, v72, -v5
	v_mul_f32_e32 v5, v35, v75
	v_dual_mul_f32 v68, v69, v103 :: v_dual_fmac_f32 v29, v27, v72
	s_delay_alu instid0(VALU_DEP_4)
	v_fma_f32 v10, v11, v76, -v3
	ds_load_2addr_b32 v[76:77], v88 offset0:56 offset1:181
	v_fma_f32 v64, v136, v74, -v5
	ds_load_2addr_b32 v[74:75], v92 offset0:68 offset1:193
	v_mul_f32_e32 v5, v30, v103
	v_mul_f32_e32 v3, v36, v79
	;; [unrolled: 1-line block ×3, first 2 shown]
	s_waitcnt lgkmcnt(3)
	v_mul_f32_e32 v33, v47, v101
	v_mul_f32_e32 v70, v135, v107
	v_fma_f32 v51, v69, v102, -v5
	v_mul_f32_e32 v5, v28, v107
	v_mul_f32_e32 v69, v132, v111
	v_fma_f32 v58, v137, v78, -v3
	v_fma_f32 v3, v55, v80, -v11
	v_fmac_f32_e32 v33, v31, v100
	v_fma_f32 v55, v135, v106, -v5
	v_mul_f32_e32 v5, v23, v111
	v_fmac_f32_e32 v69, v23, v110
	v_dual_fmac_f32 v68, v30, v102 :: v_dual_mul_f32 v27, v48, v109
	v_fmac_f32_e32 v70, v28, v106
	s_waitcnt vmcnt(5) lgkmcnt(1)
	v_dual_mul_f32 v23, v76, v119 :: v_dual_mul_f32 v28, v50, v113
	s_waitcnt lgkmcnt(0)
	v_mul_f32_e32 v36, v75, v117
	ds_load_2addr_b32 v[78:79], v97 offset0:44 offset1:169
	v_dual_mul_f32 v72, v74, v115 :: v_dual_fmac_f32 v27, v32, v108
	v_fmac_f32_e32 v28, v26, v112
	v_fmac_f32_e32 v36, v22, v116
	v_sub_f32_e32 v142, v71, v73
	s_delay_alu instid0(VALU_DEP_4)
	v_fmac_f32_e32 v72, v21, v114
	v_add_f32_e32 v111, v1, v66
	v_sub_f32_e32 v81, v28, v27
	v_sub_f32_e32 v137, v46, v36
	v_fmac_f32_e32 v23, v12, v118
	v_mul_f32_e32 v11, v31, v101
	v_dual_mul_f32 v31, v49, v105 :: v_dual_mul_f32 v12, v12, v119
	v_dual_add_f32 v102, v52, v27 :: v_dual_add_f32 v133, v46, v36
	s_delay_alu instid0(VALU_DEP_3) | instskip(SKIP_1) | instid1(VALU_DEP_4)
	v_fma_f32 v30, v47, v100, -v11
	v_mul_f32_e32 v11, v25, v105
	v_fmac_f32_e32 v31, v25, v104
	v_fma_f32 v25, v48, v108, -v19
	ds_load_2addr_b32 v[47:48], v96 offset0:62 offset1:187
	v_fma_f32 v76, v76, v118, -v12
	v_mul_f32_e32 v19, v26, v113
	v_fma_f32 v56, v49, v104, -v11
	v_fma_f32 v11, v132, v110, -v5
	v_mul_f32_e32 v26, v22, v117
	v_sub_f32_e32 v138, v67, v76
	v_fma_f32 v5, v50, v112, -v19
	ds_load_2addr_b32 v[49:50], v93 offset0:50 offset1:175
	v_mul_f32_e32 v19, v21, v115
	v_fma_f32 v21, v75, v116, -v26
	s_waitcnt vmcnt(4)
	v_dual_mul_f32 v26, v14, v121 :: v_dual_mul_f32 v75, v77, v123
	v_mul_f32_e32 v22, v13, v123
	v_fma_f32 v19, v74, v114, -v19
	v_sub_f32_e32 v140, v24, v21
	s_waitcnt vmcnt(3)
	v_dual_mul_f32 v12, v15, v125 :: v_dual_fmac_f32 v75, v13, v122
	v_fma_f32 v13, v77, v122, -v22
	s_waitcnt vmcnt(1) lgkmcnt(2)
	v_mul_f32_e32 v35, v78, v129
	s_waitcnt lgkmcnt(1)
	v_mul_f32_e32 v32, v47, v121
	v_mul_f32_e32 v22, v48, v125
	v_fma_f32 v12, v48, v124, -v12
	s_waitcnt vmcnt(0)
	v_dual_mul_f32 v48, v9, v131 :: v_dual_fmac_f32 v35, v8, v128
	v_fmac_f32_e32 v32, v14, v120
	v_fma_f32 v14, v47, v120, -v26
	v_mul_f32_e32 v26, v6, v127
	s_waitcnt lgkmcnt(0)
	v_mul_f32_e32 v74, v49, v127
	v_mul_f32_e32 v38, v50, v83
	v_fmac_f32_e32 v22, v15, v124
	v_dual_sub_f32 v112, v68, v66 :: v_dual_sub_f32 v113, v70, v75
	s_delay_alu instid0(VALU_DEP_4)
	v_fmac_f32_e32 v74, v6, v126
	v_fma_f32 v6, v49, v126, -v26
	v_mul_f32_e32 v26, v79, v131
	v_fmac_f32_e32 v38, v7, v82
	v_mul_f32_e32 v7, v7, v83
	v_mul_f32_e32 v47, v8, v129
	s_delay_alu instid0(VALU_DEP_4) | instskip(SKIP_1) | instid1(VALU_DEP_4)
	v_dual_sub_f32 v115, v32, v35 :: v_dual_fmac_f32 v26, v9, v130
	v_add_f32_e32 v112, v112, v113
	v_fma_f32 v15, v50, v82, -v7
	s_delay_alu instid0(VALU_DEP_4) | instskip(SKIP_3) | instid1(VALU_DEP_4)
	v_fma_f32 v8, v78, v128, -v47
	v_fma_f32 v7, v79, v130, -v48
	v_dual_sub_f32 v82, v22, v26 :: v_dual_sub_f32 v83, v5, v25
	v_sub_f32_e32 v100, v31, v33
	v_add_f32_e32 v116, v30, v8
	s_delay_alu instid0(VALU_DEP_3) | instskip(SKIP_1) | instid1(VALU_DEP_2)
	v_dual_sub_f32 v84, v12, v7 :: v_dual_add_f32 v109, v81, v82
	v_dual_add_f32 v81, v68, v70 :: v_dual_add_f32 v82, v66, v75
	v_dual_add_f32 v49, v62, v74 :: v_dual_add_f32 v108, v83, v84
	v_add_f32_e32 v83, v64, v30
	s_delay_alu instid0(VALU_DEP_3) | instskip(NEXT) | instid1(VALU_DEP_4)
	v_fma_f32 v110, -0.5, v81, v1
	v_fmac_f32_e32 v1, -0.5, v82
	v_add_f32_e32 v82, v56, v14
	v_sub_f32_e32 v50, v69, v62
	v_sub_f32_e32 v77, v72, v74
	v_add_f32_e32 v78, v28, v22
	v_add_f32_e32 v79, v27, v26
	v_fma_f32 v82, -0.5, v82, v64
	v_fmac_f32_e32 v64, -0.5, v116
	v_dual_sub_f32 v116, v31, v32 :: v_dual_add_f32 v115, v100, v115
	v_add_f32_e32 v48, v2, v62
	v_sub_f32_e32 v135, v34, v15
	v_sub_f32_e32 v103, v28, v22
	s_delay_alu instid0(VALU_DEP_4)
	v_dual_fmamk_f32 v100, v116, 0xbf737871, v64 :: v_dual_add_f32 v9, v69, v72
	v_sub_f32_e32 v104, v5, v12
	v_sub_f32_e32 v106, v27, v26
	;; [unrolled: 1-line block ×4, first 2 shown]
	v_fma_f32 v47, -0.5, v9, v2
	v_fmac_f32_e32 v2, -0.5, v49
	v_add_f32_e32 v49, v50, v77
	v_fma_f32 v9, -0.5, v78, v52
	v_add_f32_e32 v50, v5, v12
	v_fmac_f32_e32 v52, -0.5, v79
	v_dual_add_f32 v79, v25, v7 :: v_dual_add_f32 v78, v58, v25
	v_sub_f32_e32 v105, v3, v6
	s_delay_alu instid0(VALU_DEP_4) | instskip(SKIP_1) | instid1(VALU_DEP_4)
	v_fma_f32 v77, -0.5, v50, v58
	v_fmamk_f32 v50, v101, 0x3f737871, v2
	v_fmac_f32_e32 v58, -0.5, v79
	v_fmamk_f32 v79, v104, 0x3f737871, v52
	v_fmac_f32_e32 v52, 0xbf737871, v104
	v_fmac_f32_e32 v2, 0xbf737871, v101
	v_sub_f32_e32 v128, v23, v29
	v_fmamk_f32 v80, v103, 0xbf737871, v58
	v_fmac_f32_e32 v58, 0x3f737871, v103
	v_fmac_f32_e32 v52, 0x3f167918, v107
	;; [unrolled: 1-line block ×3, first 2 shown]
	v_add_f32_e32 v125, v37, v29
	v_sub_f32_e32 v129, v45, v46
	v_fmac_f32_e32 v58, 0xbf167918, v106
	v_fmac_f32_e32 v52, 0x3e9e377a, v109
	;; [unrolled: 1-line block ×3, first 2 shown]
	v_add_f32_e32 v126, v41, v23
	v_sub_f32_e32 v130, v38, v36
	v_fmac_f32_e32 v58, 0x3e9e377a, v108
	v_sub_f32_e32 v134, v45, v38
	v_fma_f32 v133, -0.5, v133, v61
	v_dual_sub_f32 v117, v56, v30 :: v_dual_sub_f32 v118, v14, v8
	s_delay_alu instid0(VALU_DEP_4) | instskip(SKIP_1) | instid1(VALU_DEP_4)
	v_mul_f32_e32 v124, 0xbf737871, v58
	v_fmac_f32_e32 v64, 0x3f737871, v116
	v_fmamk_f32 v139, v135, 0xbf737871, v133
	v_fmac_f32_e32 v133, 0x3f737871, v135
	v_sub_f32_e32 v120, v51, v55
	v_fmac_f32_e32 v124, 0xbe9e377a, v52
	v_cndmask_b32_e64 v132, 0, 0xbb8, s0
	v_add_f32_e32 v149, v45, v38
	v_fmac_f32_e32 v133, 0x3f167918, v140
	s_delay_alu instid0(VALU_DEP_4)
	v_dual_fmamk_f32 v122, v120, 0x3f737871, v1 :: v_dual_add_f32 v127, v2, v124
	v_sub_f32_e32 v2, v2, v124
	v_fma_f32 v124, -0.5, v125, v0
	v_fma_f32 v125, -0.5, v126, v0
	v_sub_f32_e32 v126, v41, v37
	v_dual_add_f32 v0, v0, v41 :: v_dual_sub_f32 v27, v27, v28
	s_delay_alu instid0(VALU_DEP_4) | instskip(SKIP_1) | instid1(VALU_DEP_4)
	v_fmamk_f32 v141, v138, 0xbf737871, v124
	v_fmac_f32_e32 v124, 0x3f737871, v138
	v_add_f32_e32 v126, v126, v128
	v_add_f32_e32 v128, v129, v130
	s_delay_alu instid0(VALU_DEP_4) | instskip(SKIP_3) | instid1(VALU_DEP_4)
	v_dual_add_f32 v130, v24, v21 :: v_dual_fmac_f32 v141, 0xbf167918, v142
	v_fmamk_f32 v148, v142, 0x3f737871, v125
	v_fmac_f32_e32 v125, 0xbf737871, v142
	v_fmac_f32_e32 v124, 0x3f167918, v142
	v_fma_f32 v130, -0.5, v130, v63
	v_add_f32_e32 v81, v31, v32
	v_fmac_f32_e32 v141, 0x3e9e377a, v126
	v_sub_f32_e32 v123, v10, v13
	s_delay_alu instid0(VALU_DEP_4)
	v_dual_sub_f32 v145, v37, v41 :: v_dual_fmamk_f32 v136, v134, 0x3f737871, v130
	v_add_f32_e32 v0, v0, v37
	v_fmac_f32_e32 v148, 0xbf167918, v138
	v_fmac_f32_e32 v125, 0x3f167918, v138
	v_fmac_f32_e32 v130, 0xbf737871, v134
	v_fmac_f32_e32 v136, 0x3f167918, v137
	v_sub_f32_e32 v146, v29, v23
	v_add_f32_e32 v84, v33, v35
	v_dual_sub_f32 v119, v33, v35 :: v_dual_fmac_f32 v124, 0x3e9e377a, v126
	v_fmac_f32_e32 v133, 0x3e9e377a, v128
	v_add_f32_e32 v117, v117, v118
	v_sub_f32_e32 v118, v56, v14
	s_delay_alu instid0(VALU_DEP_4)
	v_fmac_f32_e32 v64, 0xbf167918, v119
	v_fma_f32 v81, -0.5, v81, v57
	v_dual_add_f32 v114, v57, v33 :: v_dual_fmac_f32 v57, -0.5, v84
	v_dual_add_f32 v145, v145, v146 :: v_dual_add_f32 v0, v0, v29
	v_fmac_f32_e32 v1, 0xbf737871, v120
	v_fmac_f32_e32 v64, 0x3e9e377a, v117
	s_delay_alu instid0(VALU_DEP_4) | instskip(NEXT) | instid1(VALU_DEP_4)
	v_fmamk_f32 v84, v118, 0x3f737871, v57
	v_dual_fmac_f32 v148, 0x3e9e377a, v145 :: v_dual_sub_f32 v121, v30, v8
	v_fmac_f32_e32 v125, 0x3e9e377a, v145
	v_fmac_f32_e32 v57, 0xbf737871, v118
	v_add3_u32 v132, 0, v132, v42
	v_add_f32_e32 v42, v0, v23
	v_fmac_f32_e32 v1, 0x3f167918, v123
	v_mul_f32_e32 v113, 0xbf737871, v64
	v_dual_fmac_f32 v57, 0x3f167918, v121 :: v_dual_sub_f32 v30, v30, v56
	v_sub_f32_e32 v129, v15, v21
	s_delay_alu instid0(VALU_DEP_4) | instskip(SKIP_1) | instid1(VALU_DEP_4)
	v_fmac_f32_e32 v1, 0x3e9e377a, v112
	v_fmac_f32_e32 v100, 0x3f167918, v119
	;; [unrolled: 1-line block ×3, first 2 shown]
	v_dual_fmac_f32 v130, 0xbf167918, v137 :: v_dual_fmac_f32 v139, 0xbf167918, v140
	v_fmac_f32_e32 v80, 0x3f167918, v106
	s_delay_alu instid0(VALU_DEP_3) | instskip(SKIP_1) | instid1(VALU_DEP_2)
	v_dual_mul_f32 v64, 0xbe9e377a, v64 :: v_dual_fmac_f32 v113, 0xbe9e377a, v57
	v_mul_f32_e32 v58, 0xbe9e377a, v58
	v_dual_fmac_f32 v80, 0x3e9e377a, v108 :: v_dual_add_f32 v131, v1, v113
	v_sub_f32_e32 v113, v1, v113
	v_sub_f32_e32 v1, v34, v24
	s_delay_alu instid0(VALU_DEP_1) | instskip(SKIP_3) | instid1(VALU_DEP_3)
	v_dual_fmac_f32 v58, 0x3f737871, v52 :: v_dual_add_f32 v129, v1, v129
	v_add_f32_e32 v1, v61, v45
	v_sub_f32_e32 v45, v46, v45
	v_fmac_f32_e32 v61, -0.5, v149
	v_dual_fmac_f32 v130, 0x3e9e377a, v129 :: v_dual_add_f32 v1, v1, v46
	v_fmac_f32_e32 v136, 0x3e9e377a, v129
	s_delay_alu instid0(VALU_DEP_3) | instskip(SKIP_3) | instid1(VALU_DEP_4)
	v_fmamk_f32 v146, v140, 0x3f737871, v61
	v_fmac_f32_e32 v61, 0xbf737871, v140
	v_add_nc_u32_e32 v129, 0x400, v132
	v_dual_add_f32 v1, v1, v36 :: v_dual_sub_f32 v36, v36, v38
	v_fmac_f32_e32 v146, 0xbf167918, v135
	s_delay_alu instid0(VALU_DEP_2) | instskip(SKIP_1) | instid1(VALU_DEP_4)
	v_add_f32_e32 v144, v1, v38
	v_add_f32_e32 v38, v34, v15
	v_dual_add_f32 v36, v45, v36 :: v_dual_add_f32 v45, v63, v34
	s_delay_alu instid0(VALU_DEP_3) | instskip(NEXT) | instid1(VALU_DEP_3)
	v_dual_sub_f32 v34, v24, v34 :: v_dual_add_f32 v147, v42, v144
	v_dual_fmac_f32 v63, -0.5, v38 :: v_dual_sub_f32 v38, v21, v15
	s_delay_alu instid0(VALU_DEP_3) | instskip(SKIP_1) | instid1(VALU_DEP_3)
	v_fmac_f32_e32 v146, 0x3e9e377a, v36
	v_fmac_f32_e32 v50, 0xbf167918, v105
	v_dual_sub_f32 v42, v42, v144 :: v_dual_fmamk_f32 v149, v137, 0xbf737871, v63
	s_delay_alu instid0(VALU_DEP_4) | instskip(SKIP_1) | instid1(VALU_DEP_3)
	v_dual_fmac_f32 v63, 0x3f737871, v137 :: v_dual_add_f32 v34, v34, v38
	v_dual_mul_f32 v38, 0xbf167918, v130 :: v_dual_fmac_f32 v79, 0xbf167918, v107
	v_fmac_f32_e32 v149, 0x3f167918, v134
	s_delay_alu instid0(VALU_DEP_3)
	v_fmac_f32_e32 v63, 0xbf167918, v134
	ds_load_2addr_b32 v[0:1], v85 offset1:125
	v_fmac_f32_e32 v38, 0xbf4f1bbd, v133
	v_dual_fmac_f32 v139, 0x3e9e377a, v128 :: v_dual_fmac_f32 v100, 0x3e9e377a, v117
	v_fmac_f32_e32 v149, 0x3e9e377a, v34
	v_fmac_f32_e32 v63, 0x3e9e377a, v34
	;; [unrolled: 1-line block ×4, first 2 shown]
	v_add_f32_e32 v128, v124, v38
	v_mul_f32_e32 v34, 0xbf737871, v149
	s_waitcnt lgkmcnt(0)
	s_barrier
	buffer_gl0_inv
	v_sub_f32_e32 v38, v124, v38
	v_fmac_f32_e32 v34, 0x3e9e377a, v146
	s_delay_alu instid0(VALU_DEP_1) | instskip(SKIP_1) | instid1(VALU_DEP_2)
	v_dual_add_f32 v46, v148, v34 :: v_dual_mul_f32 v143, 0xbf167918, v136
	v_fmac_f32_e32 v84, 0xbf167918, v121
	v_dual_sub_f32 v34, v148, v34 :: v_dual_fmac_f32 v143, 0x3f4f1bbd, v139
	s_delay_alu instid0(VALU_DEP_2) | instskip(NEXT) | instid1(VALU_DEP_2)
	v_fmac_f32_e32 v84, 0x3e9e377a, v115
	v_sub_f32_e32 v134, v141, v143
	v_fmac_f32_e32 v122, 0xbf167918, v123
	v_add_f32_e32 v150, v141, v143
	s_delay_alu instid0(VALU_DEP_2)
	v_fmac_f32_e32 v122, 0x3e9e377a, v112
	v_fmac_f32_e32 v61, 0x3f167918, v135
	v_add_nc_u32_e32 v135, 0x600, v132
	ds_store_2addr_b32 v132, v147, v150 offset1:75
	v_fmac_f32_e32 v61, 0x3e9e377a, v36
	v_mul_f32_e32 v36, 0xbf737871, v63
	v_add_f32_e32 v56, v83, v56
	s_delay_alu instid0(VALU_DEP_2) | instskip(NEXT) | instid1(VALU_DEP_1)
	v_fmac_f32_e32 v36, 0xbe9e377a, v61
	v_add_f32_e32 v126, v125, v36
	ds_store_2addr_b32 v132, v46, v126 offset0:150 offset1:225
	ds_store_2addr_b32 v129, v128, v42 offset0:44 offset1:119
	ds_store_2addr_b32 v135, v134, v34 offset0:66 offset1:141
	v_add_f32_e32 v34, v114, v31
	v_sub_f32_e32 v31, v33, v31
	v_fmamk_f32 v114, v121, 0xbf737871, v81
	v_dual_fmac_f32 v81, 0x3f737871, v121 :: v_dual_sub_f32 v42, v66, v68
	s_delay_alu instid0(VALU_DEP_4) | instskip(SKIP_3) | instid1(VALU_DEP_3)
	v_add_f32_e32 v33, v34, v32
	v_sub_f32_e32 v32, v35, v32
	v_dual_sub_f32 v43, v8, v14 :: v_dual_and_b32 v34, 0xffff, v43
	v_sub_f32_e32 v46, v75, v70
	v_dual_fmac_f32 v114, 0xbf167918, v118 :: v_dual_add_f32 v31, v31, v32
	v_add_f32_e32 v32, v111, v68
	v_fmamk_f32 v111, v119, 0x3f737871, v82
	v_fmac_f32_e32 v82, 0xbf737871, v119
	v_mul_u32_u24_e32 v34, 0xbb8, v34
	v_add_f32_e32 v30, v30, v43
	s_delay_alu instid0(VALU_DEP_4) | instskip(NEXT) | instid1(VALU_DEP_4)
	v_dual_add_f32 v42, v42, v46 :: v_dual_fmac_f32 v111, 0x3f167918, v116
	v_fmac_f32_e32 v82, 0xbf167918, v116
	v_dual_fmamk_f32 v116, v107, 0xbf737871, v9 :: v_dual_add_f32 v33, v33, v35
	v_lshlrev_b32_e32 v35, 2, v44
	s_delay_alu instid0(VALU_DEP_4) | instskip(NEXT) | instid1(VALU_DEP_4)
	v_fmac_f32_e32 v111, 0x3e9e377a, v30
	v_fmac_f32_e32 v82, 0x3e9e377a, v30
	v_dual_fmac_f32 v9, 0x3f737871, v107 :: v_dual_sub_f32 v68, v68, v70
	s_delay_alu instid0(VALU_DEP_4)
	v_add3_u32 v124, 0, v34, v35
	v_sub_f32_e32 v107, v37, v29
	v_fmac_f32_e32 v81, 0x3f167918, v118
	v_add_f32_e32 v32, v32, v70
	v_fmac_f32_e32 v114, 0x3e9e377a, v31
	v_add_nc_u32_e32 v112, 0x400, v124
	v_dual_fmamk_f32 v43, v123, 0xbf737871, v110 :: v_dual_add_f32 v24, v45, v24
	v_fmac_f32_e32 v110, 0x3f737871, v123
	v_mul_f32_e32 v34, 0xbf167918, v111
	v_mul_f32_e32 v30, 0xbf737871, v100
	s_delay_alu instid0(VALU_DEP_4) | instskip(SKIP_3) | instid1(VALU_DEP_4)
	v_fmac_f32_e32 v43, 0xbf167918, v120
	v_fmac_f32_e32 v81, 0x3e9e377a, v31
	;; [unrolled: 1-line block ×3, first 2 shown]
	v_dual_mul_f32 v31, 0xbf167918, v82 :: v_dual_add_f32 v32, v32, v75
	v_fmac_f32_e32 v43, 0x3e9e377a, v42
	v_fmac_f32_e32 v34, 0x3f4f1bbd, v114
	v_fmac_f32_e32 v30, 0x3e9e377a, v84
	v_dual_fmac_f32 v110, 0x3e9e377a, v42 :: v_dual_add_f32 v21, v24, v21
	v_dual_fmac_f32 v31, 0xbf4f1bbd, v81 :: v_dual_sub_f32 v36, v125, v36
	s_delay_alu instid0(VALU_DEP_4) | instskip(SKIP_2) | instid1(VALU_DEP_4)
	v_dual_add_f32 v42, v43, v34 :: v_dual_add_nc_u32 v119, 0x800, v132
	v_dual_fmac_f32 v116, 0xbf167918, v104 :: v_dual_add_f32 v35, v32, v33
	v_add_f32_e32 v44, v122, v30
	v_dual_sub_f32 v32, v32, v33 :: v_dual_add_f32 v33, v110, v31
	v_sub_f32_e32 v34, v43, v34
	v_dual_sub_f32 v30, v122, v30 :: v_dual_add_nc_u32 v115, 0x600, v124
	ds_store_2addr_b32 v119, v36, v38 offset0:88 offset1:163
	ds_store_2addr_b32 v124, v35, v42 offset1:75
	ds_store_2addr_b32 v124, v44, v131 offset0:150 offset1:225
	ds_store_2addr_b32 v112, v33, v32 offset0:44 offset1:119
	;; [unrolled: 1-line block ×3, first 2 shown]
	v_sub_f32_e32 v30, v110, v31
	v_add_f32_e32 v31, v102, v28
	v_sub_f32_e32 v25, v25, v5
	v_sub_f32_e32 v32, v62, v69
	;; [unrolled: 1-line block ×3, first 2 shown]
	v_fmamk_f32 v110, v106, 0x3f737871, v77
	v_add_f32_e32 v28, v31, v22
	v_sub_f32_e32 v31, v7, v12
	v_dual_sub_f32 v120, v55, v13 :: v_dual_fmac_f32 v77, 0xbf737871, v106
	v_sub_f32_e32 v22, v26, v22
	s_delay_alu instid0(VALU_DEP_3) | instskip(SKIP_4) | instid1(VALU_DEP_4)
	v_dual_add_f32 v25, v25, v31 :: v_dual_and_b32 v34, 0xffff, v40
	v_fmamk_f32 v31, v105, 0xbf737871, v47
	v_fmac_f32_e32 v47, 0x3f737871, v105
	v_dual_sub_f32 v105, v41, v23 :: v_dual_fmac_f32 v64, 0x3f737871, v57
	v_sub_f32_e32 v33, v74, v72
	v_dual_fmac_f32 v31, 0xbf167918, v101 :: v_dual_add_f32 v26, v28, v26
	v_add_f32_e32 v28, v48, v69
	v_fmac_f32_e32 v110, 0x3f167918, v103
	s_delay_alu instid0(VALU_DEP_4) | instskip(SKIP_3) | instid1(VALU_DEP_4)
	v_dual_add_f32 v32, v32, v33 :: v_dual_fmac_f32 v77, 0xbf167918, v103
	v_add_f32_e32 v22, v27, v22
	v_mul_u32_u24_e32 v27, 0xbb8, v34
	v_lshlrev_b32_e32 v33, 2, v39
	v_fmac_f32_e32 v31, 0x3e9e377a, v32
	v_add_f32_e32 v28, v28, v72
	v_fmac_f32_e32 v110, 0x3e9e377a, v25
	v_dual_fmac_f32 v77, 0x3e9e377a, v25 :: v_dual_sub_f32 v62, v62, v74
	v_mul_f32_e32 v25, 0xbf737871, v80
	v_add3_u32 v117, 0, v27, v33
	v_dual_add_f32 v27, v28, v74 :: v_dual_sub_f32 v74, v11, v3
	v_fmac_f32_e32 v9, 0x3f167918, v104
	s_delay_alu instid0(VALU_DEP_4) | instskip(SKIP_2) | instid1(VALU_DEP_3)
	v_dual_fmac_f32 v25, 0x3e9e377a, v79 :: v_dual_fmac_f32 v116, 0x3e9e377a, v22
	v_mul_f32_e32 v28, 0xbf167918, v110
	v_fmac_f32_e32 v47, 0x3f167918, v101
	v_dual_fmac_f32 v9, 0x3e9e377a, v22 :: v_dual_add_f32 v34, v50, v25
	v_sub_f32_e32 v25, v50, v25
	v_dual_mul_f32 v22, 0xbf167918, v77 :: v_dual_add_f32 v23, v0, v67
	v_fmac_f32_e32 v28, 0x3f4f1bbd, v116
	v_fmac_f32_e32 v47, 0x3e9e377a, v32
	v_add_nc_u32_e32 v102, 0x800, v124
	s_delay_alu instid0(VALU_DEP_4) | instskip(SKIP_3) | instid1(VALU_DEP_4)
	v_fmac_f32_e32 v22, 0xbf4f1bbd, v9
	v_dual_add_f32 v32, v27, v26 :: v_dual_sub_f32 v69, v69, v72
	v_add_f32_e32 v33, v31, v28
	v_sub_f32_e32 v26, v27, v26
	v_add_f32_e32 v27, v47, v22
	v_dual_sub_f32 v28, v31, v28 :: v_dual_add_nc_u32 v101, 0x400, v117
	v_add_nc_u32_e32 v103, 0x600, v117
	ds_store_2addr_b32 v102, v113, v30 offset0:88 offset1:163
	ds_store_2addr_b32 v117, v32, v33 offset1:75
	ds_store_2addr_b32 v117, v34, v127 offset0:150 offset1:225
	ds_store_2addr_b32 v101, v27, v26 offset0:44 offset1:119
	;; [unrolled: 1-line block ×3, first 2 shown]
	v_add_f32_e32 v25, v71, v73
	v_sub_f32_e32 v22, v47, v22
	v_dual_sub_f32 v26, v76, v73 :: v_dual_add_f32 v47, v67, v76
	v_mul_f32_e32 v63, 0xbe9e377a, v63
	s_delay_alu instid0(VALU_DEP_4) | instskip(SKIP_3) | instid1(VALU_DEP_4)
	v_fma_f32 v106, -0.5, v25, v0
	v_sub_f32_e32 v25, v67, v71
	v_sub_f32_e32 v67, v71, v67
	v_fma_f32 v0, -0.5, v47, v0
	v_dual_fmac_f32 v63, 0x3f737871, v61 :: v_dual_fmamk_f32 v108, v105, 0x3f737871, v106
	s_delay_alu instid0(VALU_DEP_4) | instskip(SKIP_1) | instid1(VALU_DEP_3)
	v_dual_fmac_f32 v106, 0xbf737871, v105 :: v_dual_add_f32 v109, v25, v26
	v_dual_add_f32 v75, v51, v55 :: v_dual_add_nc_u32 v104, 0x800, v117
	v_fmac_f32_e32 v108, 0x3f167918, v107
	s_delay_alu instid0(VALU_DEP_3)
	v_fmac_f32_e32 v106, 0xbf167918, v107
	v_add_f32_e32 v23, v23, v71
	v_dual_sub_f32 v71, v73, v76 :: v_dual_add_f32 v14, v56, v14
	ds_store_2addr_b32 v104, v2, v22 offset0:88 offset1:163
	v_fmac_f32_e32 v106, 0x3e9e377a, v109
	v_add_f32_e32 v23, v23, v73
	v_dual_fmamk_f32 v73, v107, 0xbf737871, v0 :: v_dual_add_f32 v8, v14, v8
	v_fmac_f32_e32 v0, 0x3f737871, v107
	v_add_f32_e32 v67, v67, v71
	v_mul_f32_e32 v71, 0x3e9e377a, v149
	s_delay_alu instid0(VALU_DEP_4) | instskip(NEXT) | instid1(VALU_DEP_4)
	v_dual_fmac_f32 v73, 0x3f167918, v105 :: v_dual_add_f32 v2, v21, v15
	v_fmac_f32_e32 v0, 0xbf167918, v105
	v_fma_f32 v70, -0.5, v75, v1
	s_delay_alu instid0(VALU_DEP_4) | instskip(NEXT) | instid1(VALU_DEP_4)
	v_fmac_f32_e32 v71, 0x3f737871, v146
	v_fmac_f32_e32 v73, 0x3e9e377a, v67
	v_mul_f32_e32 v113, 0x3f4f1bbd, v136
	v_dual_fmac_f32 v0, 0x3e9e377a, v67 :: v_dual_add_f32 v15, v23, v76
	s_waitcnt lgkmcnt(0)
	s_barrier
	s_delay_alu instid0(VALU_DEP_2) | instskip(NEXT) | instid1(VALU_DEP_2)
	v_fmac_f32_e32 v113, 0x3f167918, v139
	v_add_f32_e32 v67, v0, v63
	v_sub_f32_e32 v0, v0, v63
	v_fmac_f32_e32 v108, 0x3e9e377a, v109
	v_add_f32_e32 v76, v15, v2
	buffer_gl0_inv
	ds_load_2addr_b32 v[21:22], v85 offset1:125
	ds_load_2addr_b32 v[23:24], v86 offset0:110 offset1:235
	ds_load_2addr_b32 v[29:30], v89 offset0:92 offset1:217
	;; [unrolled: 1-line block ×12, first 2 shown]
	v_add_f32_e32 v118, v108, v113
	ds_load_2addr_b32 v[49:50], v96 offset0:62 offset1:187
	ds_load_2addr_b32 v[47:48], v97 offset0:44 offset1:169
	s_waitcnt lgkmcnt(0)
	s_barrier
	buffer_gl0_inv
	ds_store_2addr_b32 v132, v76, v118 offset1:75
	v_add_f32_e32 v76, v10, v13
	v_sub_f32_e32 v118, v51, v10
	v_add_f32_e32 v75, v1, v10
	v_add_f32_e32 v5, v78, v5
	s_delay_alu instid0(VALU_DEP_4) | instskip(NEXT) | instid1(VALU_DEP_4)
	v_dual_sub_f32 v10, v10, v51 :: v_dual_fmac_f32 v1, -0.5, v76
	v_add_f32_e32 v76, v118, v120
	v_add_f32_e32 v118, v11, v19
	s_delay_alu instid0(VALU_DEP_4) | instskip(SKIP_1) | instid1(VALU_DEP_3)
	v_dual_add_f32 v120, v3, v6 :: v_dual_add_f32 v5, v5, v12
	v_mul_f32_e32 v12, 0xbf4f1bbd, v77
	v_fma_f32 v72, -0.5, v118, v4
	v_add_f32_e32 v61, v73, v71
	v_add_f32_e32 v118, v4, v3
	v_fmac_f32_e32 v4, -0.5, v120
	v_sub_f32_e32 v120, v19, v6
	v_sub_f32_e32 v3, v3, v11
	ds_store_2addr_b32 v132, v61, v67 offset0:150 offset1:225
	v_mul_f32_e32 v61, 0xbf4f1bbd, v130
	v_dual_fmamk_f32 v122, v69, 0xbf737871, v4 :: v_dual_add_f32 v67, v75, v51
	v_sub_f32_e32 v51, v13, v55
	v_add_f32_e32 v5, v5, v7
	s_delay_alu instid0(VALU_DEP_3) | instskip(NEXT) | instid1(VALU_DEP_4)
	v_dual_fmac_f32 v61, 0x3f167918, v133 :: v_dual_fmac_f32 v122, 0x3f167918, v62
	v_dual_fmac_f32 v4, 0x3f737871, v69 :: v_dual_add_f32 v55, v67, v55
	v_add_f32_e32 v67, v118, v11
	v_sub_f32_e32 v11, v6, v19
	v_add_f32_e32 v10, v10, v51
	s_delay_alu instid0(VALU_DEP_4)
	v_fmac_f32_e32 v4, 0xbf167918, v62
	v_mul_f32_e32 v51, 0x3e9e377a, v100
	v_add_f32_e32 v19, v67, v19
	v_fmamk_f32 v121, v68, 0xbf737871, v1
	v_fmac_f32_e32 v1, 0x3f737871, v68
	v_add_f32_e32 v3, v3, v11
	s_delay_alu instid0(VALU_DEP_4) | instskip(NEXT) | instid1(VALU_DEP_4)
	v_dual_add_f32 v57, v74, v120 :: v_dual_add_f32 v6, v19, v6
	v_fmac_f32_e32 v121, 0x3f167918, v66
	v_fmac_f32_e32 v51, 0x3f737871, v84
	v_add_f32_e32 v13, v55, v13
	s_delay_alu instid0(VALU_DEP_4)
	v_fmac_f32_e32 v4, 0x3e9e377a, v57
	v_fmac_f32_e32 v12, 0x3f167918, v9
	;; [unrolled: 1-line block ×4, first 2 shown]
	v_mul_f32_e32 v55, 0xbf4f1bbd, v82
	v_mul_f32_e32 v11, 0x3e9e377a, v80
	v_add_f32_e32 v63, v106, v61
	s_delay_alu instid0(VALU_DEP_4) | instskip(NEXT) | instid1(VALU_DEP_4)
	v_dual_fmac_f32 v1, 0x3e9e377a, v76 :: v_dual_add_f32 v56, v121, v51
	v_fmac_f32_e32 v55, 0x3f167918, v81
	s_delay_alu instid0(VALU_DEP_4) | instskip(NEXT) | instid1(VALU_DEP_3)
	v_fmac_f32_e32 v11, 0x3f737871, v79
	v_dual_sub_f32 v61, v106, v61 :: v_dual_add_f32 v52, v1, v64
	v_dual_sub_f32 v1, v1, v64 :: v_dual_add_f32 v64, v4, v58
	v_sub_f32_e32 v4, v4, v58
	v_dual_sub_f32 v58, v73, v71 :: v_dual_fmamk_f32 v71, v66, 0x3f737871, v70
	v_fmac_f32_e32 v70, 0xbf737871, v66
	v_dual_sub_f32 v2, v15, v2 :: v_dual_sub_f32 v15, v108, v113
	v_add_f32_e32 v14, v13, v8
	s_delay_alu instid0(VALU_DEP_4) | instskip(NEXT) | instid1(VALU_DEP_4)
	v_fmac_f32_e32 v71, 0x3f167918, v68
	v_fmac_f32_e32 v70, 0xbf167918, v68
	v_fmamk_f32 v68, v62, 0x3f737871, v72
	v_fmac_f32_e32 v72, 0xbf737871, v62
	s_delay_alu instid0(VALU_DEP_4) | instskip(NEXT) | instid1(VALU_DEP_4)
	v_dual_sub_f32 v8, v13, v8 :: v_dual_fmac_f32 v71, 0x3e9e377a, v10
	v_fmac_f32_e32 v70, 0x3e9e377a, v10
	s_delay_alu instid0(VALU_DEP_4) | instskip(NEXT) | instid1(VALU_DEP_4)
	v_fmac_f32_e32 v68, 0x3f167918, v69
	v_fmac_f32_e32 v72, 0xbf167918, v69
	v_mul_f32_e32 v10, 0x3f4f1bbd, v111
	v_sub_f32_e32 v51, v121, v51
	v_add_f32_e32 v66, v70, v55
	v_fmac_f32_e32 v68, 0x3e9e377a, v3
	v_fmac_f32_e32 v122, 0x3e9e377a, v57
	v_fmac_f32_e32 v72, 0x3e9e377a, v3
	v_mul_f32_e32 v3, 0x3f4f1bbd, v110
	v_dual_fmac_f32 v10, 0x3f167918, v114 :: v_dual_sub_f32 v55, v70, v55
	v_add_f32_e32 v7, v6, v5
	v_sub_f32_e32 v5, v6, v5
	s_delay_alu instid0(VALU_DEP_4) | instskip(NEXT) | instid1(VALU_DEP_4)
	v_fmac_f32_e32 v3, 0x3f167918, v116
	v_add_f32_e32 v13, v71, v10
	v_dual_sub_f32 v10, v71, v10 :: v_dual_add_f32 v9, v122, v11
	v_sub_f32_e32 v11, v122, v11
	s_delay_alu instid0(VALU_DEP_4)
	v_add_f32_e32 v6, v68, v3
	v_sub_f32_e32 v3, v68, v3
	v_add_f32_e32 v19, v72, v12
	v_sub_f32_e32 v12, v72, v12
	ds_store_2addr_b32 v129, v63, v2 offset0:44 offset1:119
	ds_store_2addr_b32 v135, v15, v58 offset0:66 offset1:141
	;; [unrolled: 1-line block ×3, first 2 shown]
	ds_store_2addr_b32 v124, v14, v13 offset1:75
	ds_store_2addr_b32 v124, v56, v52 offset0:150 offset1:225
	ds_store_2addr_b32 v112, v66, v8 offset0:44 offset1:119
	;; [unrolled: 1-line block ×4, first 2 shown]
	ds_store_2addr_b32 v117, v7, v6 offset1:75
	ds_store_2addr_b32 v117, v9, v64 offset0:150 offset1:225
	ds_store_2addr_b32 v101, v19, v5 offset0:44 offset1:119
	;; [unrolled: 1-line block ×4, first 2 shown]
	s_waitcnt lgkmcnt(0)
	s_barrier
	buffer_gl0_inv
	s_and_saveexec_b32 s0, vcc_lo
	s_cbranch_execz .LBB0_13
; %bb.12:
	v_lshlrev_b32_e32 v19, 2, v54
	s_delay_alu instid0(VALU_DEP_1) | instskip(NEXT) | instid1(VALU_DEP_1)
	v_lshlrev_b64 v[0:1], 3, v[19:20]
	v_add_co_u32 v2, vcc_lo, s4, v0
	s_delay_alu instid0(VALU_DEP_2) | instskip(NEXT) | instid1(VALU_DEP_2)
	v_add_co_ci_u32_e32 v3, vcc_lo, s5, v1, vcc_lo
	v_add_co_u32 v0, vcc_lo, 0x1000, v2
	s_delay_alu instid0(VALU_DEP_2)
	v_add_co_ci_u32_e32 v1, vcc_lo, 0, v3, vcc_lo
	v_add_co_u32 v2, vcc_lo, 0x1758, v2
	v_add_co_ci_u32_e32 v3, vcc_lo, 0, v3, vcc_lo
	s_clause 0x1
	global_load_b128 v[8:11], v[0:1], off offset:1880
	global_load_b128 v[12:15], v[2:3], off offset:16
	v_lshlrev_b32_e32 v19, 2, v53
	v_mul_hi_u32 v53, 0x57619f1, v53
	s_waitcnt vmcnt(0)
	v_mul_f32_e32 v116, v48, v15
	s_delay_alu instid0(VALU_DEP_3) | instskip(NEXT) | instid1(VALU_DEP_1)
	v_lshlrev_b64 v[4:5], 3, v[19:20]
	v_add_co_u32 v2, vcc_lo, s4, v4
	s_delay_alu instid0(VALU_DEP_2) | instskip(NEXT) | instid1(VALU_DEP_2)
	v_add_co_ci_u32_e32 v3, vcc_lo, s5, v5, vcc_lo
	v_add_co_u32 v0, vcc_lo, 0x1000, v2
	s_delay_alu instid0(VALU_DEP_2)
	v_add_co_ci_u32_e32 v1, vcc_lo, 0, v3, vcc_lo
	v_add_co_u32 v4, vcc_lo, 0x1758, v2
	v_add_co_ci_u32_e32 v5, vcc_lo, 0, v3, vcc_lo
	s_clause 0x1
	global_load_b128 v[0:3], v[0:1], off offset:1880
	global_load_b128 v[4:7], v[4:5], off offset:16
	v_lshlrev_b32_e32 v19, 2, v65
	s_delay_alu instid0(VALU_DEP_1) | instskip(NEXT) | instid1(VALU_DEP_1)
	v_lshlrev_b64 v[51:52], 3, v[19:20]
	v_add_co_u32 v19, vcc_lo, s4, v51
	s_delay_alu instid0(VALU_DEP_2) | instskip(NEXT) | instid1(VALU_DEP_2)
	v_add_co_ci_u32_e32 v55, vcc_lo, s5, v52, vcc_lo
	v_add_co_u32 v51, vcc_lo, 0x1000, v19
	s_delay_alu instid0(VALU_DEP_2)
	v_add_co_ci_u32_e32 v52, vcc_lo, 0, v55, vcc_lo
	v_add_co_u32 v61, vcc_lo, 0x1758, v19
	v_lshlrev_b32_e32 v19, 2, v60
	v_add_co_ci_u32_e32 v62, vcc_lo, 0, v55, vcc_lo
	s_clause 0x1
	global_load_b128 v[55:58], v[51:52], off offset:1880
	global_load_b128 v[61:64], v[61:62], off offset:16
	v_lshlrev_b64 v[51:52], 3, v[19:20]
	s_delay_alu instid0(VALU_DEP_1) | instskip(NEXT) | instid1(VALU_DEP_2)
	v_add_co_u32 v19, vcc_lo, s4, v51
	v_add_co_ci_u32_e32 v60, vcc_lo, s5, v52, vcc_lo
	s_delay_alu instid0(VALU_DEP_2) | instskip(NEXT) | instid1(VALU_DEP_2)
	v_add_co_u32 v51, vcc_lo, 0x1000, v19
	v_add_co_ci_u32_e32 v52, vcc_lo, 0, v60, vcc_lo
	v_add_co_u32 v69, vcc_lo, 0x1758, v19
	v_add_co_ci_u32_e32 v70, vcc_lo, 0, v60, vcc_lo
	s_clause 0x1
	global_load_b128 v[65:68], v[51:52], off offset:1880
	global_load_b128 v[69:72], v[69:70], off offset:16
	v_lshlrev_b32_e32 v19, 2, v59
	s_delay_alu instid0(VALU_DEP_1) | instskip(NEXT) | instid1(VALU_DEP_1)
	v_lshlrev_b64 v[51:52], 3, v[19:20]
	v_add_co_u32 v19, vcc_lo, s4, v51
	s_delay_alu instid0(VALU_DEP_2) | instskip(NEXT) | instid1(VALU_DEP_2)
	v_add_co_ci_u32_e32 v60, vcc_lo, s5, v52, vcc_lo
	v_add_co_u32 v51, vcc_lo, 0x1000, v19
	s_delay_alu instid0(VALU_DEP_2)
	v_add_co_ci_u32_e32 v52, vcc_lo, 0, v60, vcc_lo
	v_add_co_u32 v59, vcc_lo, 0x1758, v19
	v_add_co_ci_u32_e32 v60, vcc_lo, 0, v60, vcc_lo
	s_clause 0x1
	global_load_b128 v[73:76], v[51:52], off offset:1880
	global_load_b128 v[77:80], v[59:60], off offset:16
	v_lshlrev_b32_e32 v19, 2, v18
	ds_load_2addr_b32 v[51:52], v99 offset0:80 offset1:205
	ds_load_2addr_b32 v[59:60], v98 offset0:98 offset1:223
	;; [unrolled: 1-line block ×11, first 2 shown]
	v_lshlrev_b64 v[81:82], 3, v[19:20]
	ds_load_2addr_b32 v[110:111], v86 offset0:110 offset1:235
	ds_load_2addr_b32 v[112:113], v87 offset0:74 offset1:199
	;; [unrolled: 1-line block ×3, first 2 shown]
	v_mul_f32_e32 v93, v50, v13
	v_add_co_u32 v19, vcc_lo, s4, v81
	v_add_co_ci_u32_e32 v83, vcc_lo, s5, v82, vcc_lo
	s_delay_alu instid0(VALU_DEP_2) | instskip(NEXT) | instid1(VALU_DEP_2)
	v_add_co_u32 v81, vcc_lo, 0x1000, v19
	v_add_co_ci_u32_e32 v82, vcc_lo, 0, v83, vcc_lo
	v_add_co_u32 v89, vcc_lo, 0x1758, v19
	v_add_co_ci_u32_e32 v90, vcc_lo, 0, v83, vcc_lo
	s_clause 0x1
	global_load_b128 v[81:84], v[81:82], off offset:1880
	global_load_b128 v[86:89], v[89:90], off offset:16
	s_waitcnt lgkmcnt(11)
	v_mul_f32_e32 v13, v99, v13
	s_waitcnt lgkmcnt(10)
	v_dual_mul_f32 v15, v97, v15 :: v_dual_mul_f32 v90, v44, v9
	s_delay_alu instid0(VALU_DEP_1) | instskip(SKIP_3) | instid1(VALU_DEP_2)
	v_fmac_f32_e32 v15, v48, v14
	s_waitcnt vmcnt(8)
	v_dual_mul_f32 v48, v96, v7 :: v_dual_fmac_f32 v13, v50, v12
	v_mul_f32_e32 v19, v46, v11
	v_dual_mul_f32 v11, v52, v11 :: v_dual_fmac_f32 v48, v47, v6
	s_delay_alu instid0(VALU_DEP_1) | instskip(SKIP_1) | instid1(VALU_DEP_2)
	v_fmac_f32_e32 v11, v46, v10
	v_mul_f32_e32 v46, v98, v5
	v_sub_f32_e32 v50, v11, v13
	v_fma_f32 v19, v10, v52, -v19
	v_mul_f32_e32 v9, v60, v9
	v_fma_f32 v52, v8, v60, -v90
	v_fma_f32 v90, v14, v97, -v116
	v_mul_f32_e32 v10, v43, v1
	s_delay_alu instid0(VALU_DEP_4)
	v_dual_mul_f32 v14, v47, v7 :: v_dual_fmac_f32 v9, v44, v8
	v_mul_f32_e32 v8, v45, v3
	v_mul_f32_e32 v44, v51, v3
	v_fma_f32 v60, v12, v99, -v93
	v_mul_f32_e32 v12, v49, v5
	v_mul_f32_e32 v5, v59, v1
	v_sub_f32_e32 v1, v19, v52
	v_add_f32_e32 v7, v52, v90
	v_dual_sub_f32 v3, v60, v90 :: v_dual_fmac_f32 v46, v49, v4
	v_dual_sub_f32 v97, v52, v19 :: v_dual_add_f32 v116, v19, v60
	v_add_f32_e32 v120, v9, v15
	v_fma_f32 v8, v2, v51, -v8
	v_fma_f32 v10, v0, v59, -v10
	;; [unrolled: 1-line block ×3, first 2 shown]
	s_waitcnt vmcnt(6)
	v_mul_f32_e32 v12, v38, v62
	v_fma_f32 v59, v6, v96, -v14
	v_fmac_f32_e32 v44, v45, v2
	v_dual_mul_f32 v4, v36, v58 :: v_dual_sub_f32 v99, v90, v60
	s_waitcnt lgkmcnt(9)
	v_add_f32_e32 v117, v52, v101
	v_sub_f32_e32 v52, v52, v90
	v_add_f32_e32 v124, v11, v13
	v_sub_f32_e32 v118, v11, v9
	v_sub_f32_e32 v122, v9, v11
	;; [unrolled: 1-line block ×3, first 2 shown]
	v_dual_sub_f32 v119, v13, v15 :: v_dual_mul_f32 v14, v40, v64
	v_dual_sub_f32 v123, v15, v13 :: v_dual_sub_f32 v96, v44, v46
	v_add_f32_e32 v9, v42, v9
	v_mul_f32_e32 v6, v34, v56
	v_sub_f32_e32 v121, v19, v60
	v_fmac_f32_e32 v5, v43, v0
	s_waitcnt lgkmcnt(6)
	v_mul_f32_e32 v45, v92, v62
	v_mul_f32_e32 v47, v103, v56
	s_waitcnt lgkmcnt(5)
	v_mul_f32_e32 v49, v105, v64
	v_add_f32_e32 v56, v1, v3
	v_fma_f32 v1, -0.5, v7, v101
	v_fma_f32 v3, -0.5, v116, v101
	;; [unrolled: 1-line block ×3, first 2 shown]
	v_dual_add_f32 v64, v122, v123 :: v_dual_mul_f32 v43, v95, v58
	v_sub_f32_e32 v98, v5, v48
	v_dual_add_f32 v58, v97, v99 :: v_dual_add_f32 v19, v19, v117
	v_fma_f32 v2, -0.5, v124, v42
	v_sub_f32_e32 v42, v51, v59
	v_dual_add_f32 v9, v11, v9 :: v_dual_sub_f32 v122, v8, v51
	v_sub_f32_e32 v99, v10, v8
	v_sub_f32_e32 v101, v59, v51
	v_fma_f32 v103, v55, v103, -v6
	v_fma_f32 v105, v63, v105, -v14
	v_dual_add_f32 v62, v118, v119 :: v_dual_sub_f32 v11, v8, v10
	v_dual_add_f32 v126, v41, v5 :: v_dual_add_f32 v97, v10, v59
	v_sub_f32_e32 v124, v48, v46
	v_dual_add_f32 v116, v8, v51 :: v_dual_add_f32 v117, v10, v100
	v_fmamk_f32 v6, v121, 0xbf737871, v0
	v_dual_sub_f32 v118, v44, v5 :: v_dual_sub_f32 v119, v46, v48
	v_fmac_f32_e32 v0, 0x3f737871, v121
	v_sub_f32_e32 v120, v10, v59
	v_add_f32_e32 v10, v5, v48
	v_sub_f32_e32 v123, v5, v44
	s_waitcnt vmcnt(5)
	v_dual_add_f32 v125, v44, v46 :: v_dual_mul_f32 v14, v35, v68
	v_fma_f32 v95, v57, v95, -v4
	v_fma_f32 v92, v61, v92, -v12
	v_fmac_f32_e32 v43, v36, v57
	v_fmac_f32_e32 v45, v38, v61
	;; [unrolled: 1-line block ×3, first 2 shown]
	v_dual_fmac_f32 v49, v40, v63 :: v_dual_add_f32 v40, v9, v13
	v_mul_f32_e32 v34, v33, v66
	s_waitcnt vmcnt(4)
	v_mul_f32_e32 v36, v37, v70
	v_mul_f32_e32 v38, v39, v72
	v_dual_mul_f32 v57, v94, v68 :: v_dual_fmamk_f32 v4, v52, 0x3f737871, v2
	v_dual_fmac_f32 v2, 0xbf737871, v52 :: v_dual_add_f32 v19, v60, v19
	v_add_f32_e32 v60, v99, v101
	v_add_f32_e32 v99, v103, v105
	v_mul_f32_e32 v61, v91, v70
	v_dual_mul_f32 v63, v102, v66 :: v_dual_add_f32 v70, v123, v124
	v_dual_mul_f32 v66, v104, v72 :: v_dual_fmamk_f32 v7, v50, 0x3f737871, v1
	v_dual_fmac_f32 v1, 0xbf737871, v50 :: v_dual_add_f32 v68, v118, v119
	v_dual_fmamk_f32 v5, v93, 0xbf737871, v3 :: v_dual_sub_f32 v72, v92, v105
	v_fmac_f32_e32 v3, 0x3f737871, v93
	v_dual_add_f32 v55, v11, v42 :: v_dual_fmac_f32 v6, 0x3f167918, v52
	v_fma_f32 v11, -0.5, v97, v100
	v_fma_f32 v13, -0.5, v116, v100
	v_add_f32_e32 v42, v8, v117
	v_fma_f32 v10, -0.5, v10, v41
	v_fma_f32 v12, -0.5, v125, v41
	s_waitcnt lgkmcnt(4)
	v_dual_add_f32 v41, v44, v126 :: v_dual_add_f32 v118, v103, v107
	v_dual_sub_f32 v97, v43, v45 :: v_dual_fmac_f32 v0, 0xbf167918, v52
	v_sub_f32_e32 v100, v47, v49
	v_sub_f32_e32 v119, v43, v47
	v_dual_sub_f32 v123, v45, v49 :: v_dual_sub_f32 v126, v47, v43
	v_dual_add_f32 v124, v47, v49 :: v_dual_add_f32 v47, v32, v47
	v_dual_add_f32 v128, v43, v45 :: v_dual_fmac_f32 v5, 0xbf167918, v50
	v_fma_f32 v94, v67, v94, -v14
	v_fma_f32 v102, v65, v102, -v34
	;; [unrolled: 1-line block ×4, first 2 shown]
	v_add_f32_e32 v8, v40, v15
	v_fma_f32 v36, -0.5, v99, v107
	v_sub_f32_e32 v44, v95, v103
	v_dual_sub_f32 v101, v103, v95 :: v_dual_fmac_f32 v4, 0x3f167918, v121
	v_sub_f32_e32 v116, v105, v92
	v_dual_add_f32 v117, v95, v92 :: v_dual_fmac_f32 v2, 0xbf167918, v121
	v_dual_sub_f32 v125, v95, v92 :: v_dual_fmamk_f32 v14, v120, 0x3f737871, v12
	v_dual_sub_f32 v127, v49, v45 :: v_dual_fmac_f32 v66, v39, v71
	v_dual_fmac_f32 v57, v35, v67 :: v_dual_fmac_f32 v12, 0xbf737871, v120
	v_fmac_f32_e32 v61, v37, v69
	v_fmac_f32_e32 v63, v33, v65
	;; [unrolled: 1-line block ×3, first 2 shown]
	v_dual_add_f32 v9, v90, v19 :: v_dual_fmac_f32 v6, 0x3e9e377a, v62
	v_add_f32_e32 v19, v51, v42
	v_fma_f32 v35, -0.5, v124, v32
	v_fma_f32 v37, -0.5, v128, v32
	v_dual_add_f32 v32, v43, v47 :: v_dual_fmac_f32 v3, 0x3f167918, v50
	v_add_f32_e32 v39, v41, v46
	v_dual_add_f32 v41, v95, v118 :: v_dual_fmac_f32 v4, 0x3e9e377a, v64
	v_dual_sub_f32 v46, v94, v102 :: v_dual_fmac_f32 v1, 0x3f167918, v93
	v_sub_f32_e32 v90, v63, v66
	v_dual_sub_f32 v47, v91, v104 :: v_dual_fmac_f32 v14, 0x3f167918, v122
	v_add_f32_e32 v50, v102, v104
	v_dual_sub_f32 v51, v102, v94 :: v_dual_fmamk_f32 v42, v97, 0x3f737871, v36
	v_dual_add_f32 v93, v94, v91 :: v_dual_fmac_f32 v12, 0xbf167918, v122
	v_dual_sub_f32 v103, v103, v105 :: v_dual_fmamk_f32 v34, v96, 0x3f737871, v11
	v_dual_fmac_f32 v11, 0xbf737871, v96 :: v_dual_sub_f32 v52, v104, v91
	v_dual_fmamk_f32 v33, v122, 0xbf737871, v10 :: v_dual_add_f32 v32, v32, v45
	v_dual_fmac_f32 v10, 0x3f737871, v122 :: v_dual_add_f32 v65, v44, v72
	v_dual_fmac_f32 v0, 0x3e9e377a, v62 :: v_dual_add_f32 v67, v101, v116
	v_fmac_f32_e32 v34, 0xbf167918, v98
	v_fma_f32 v38, -0.5, v117, v107
	v_dual_sub_f32 v72, v57, v61 :: v_dual_add_f32 v95, v102, v106
	v_dual_fmac_f32 v36, 0xbf737871, v97 :: v_dual_add_f32 v107, v63, v66
	v_sub_f32_e32 v116, v94, v91
	v_dual_fmamk_f32 v15, v98, 0xbf737871, v13 :: v_dual_add_f32 v40, v59, v19
	v_dual_fmac_f32 v13, 0x3f737871, v98 :: v_dual_sub_f32 v102, v102, v104
	v_dual_sub_f32 v118, v66, v61 :: v_dual_add_f32 v39, v39, v48
	v_dual_fmac_f32 v12, 0x3e9e377a, v70 :: v_dual_add_f32 v19, v92, v41
	v_fmac_f32_e32 v42, 0xbf167918, v100
	v_fmac_f32_e32 v5, 0x3e9e377a, v58
	v_dual_fmac_f32 v3, 0x3e9e377a, v58 :: v_dual_add_f32 v58, v46, v47
	v_fma_f32 v46, -0.5, v50, v106
	s_delay_alu instid0(VALU_DEP_4)
	v_fmac_f32_e32 v42, 0x3e9e377a, v65
	v_fmamk_f32 v41, v125, 0xbf737871, v35
	v_fmac_f32_e32 v35, 0x3f737871, v125
	v_fma_f32 v48, -0.5, v93, v106
	v_dual_add_f32 v69, v119, v123 :: v_dual_fmac_f32 v2, 0x3e9e377a, v64
	v_dual_add_f32 v71, v126, v127 :: v_dual_fmac_f32 v10, 0xbf167918, v120
	v_dual_sub_f32 v99, v57, v63 :: v_dual_fmamk_f32 v44, v100, 0xbf737871, v38
	v_dual_sub_f32 v101, v61, v66 :: v_dual_fmac_f32 v38, 0x3f737871, v100
	s_delay_alu instid0(VALU_DEP_3) | instskip(NEXT) | instid1(VALU_DEP_2)
	v_dual_add_f32 v119, v57, v61 :: v_dual_fmac_f32 v10, 0x3e9e377a, v68
	v_dual_fmac_f32 v7, 0x3e9e377a, v56 :: v_dual_add_f32 v62, v99, v101
	v_dual_fmac_f32 v1, 0x3e9e377a, v56 :: v_dual_fmac_f32 v14, 0x3e9e377a, v70
	v_dual_fmac_f32 v11, 0x3f167918, v98 :: v_dual_fmac_f32 v36, 0x3f167918, v100
	;; [unrolled: 1-line block ×4, first 2 shown]
	v_fmamk_f32 v43, v103, 0x3f737871, v37
	v_dual_fmac_f32 v37, 0xbf737871, v103 :: v_dual_fmamk_f32 v56, v90, 0xbf737871, v48
	v_dual_add_f32 v59, v51, v52 :: v_dual_fmac_f32 v36, 0x3e9e377a, v65
	v_dual_fmamk_f32 v52, v72, 0x3f737871, v46 :: v_dual_add_f32 v51, v94, v95
	s_delay_alu instid0(VALU_DEP_3)
	v_dual_fmac_f32 v35, 0xbf167918, v103 :: v_dual_fmac_f32 v56, 0xbf167918, v72
	v_fmac_f32_e32 v46, 0xbf737871, v72
	v_fmac_f32_e32 v33, 0x3f167918, v120
	;; [unrolled: 1-line block ×4, first 2 shown]
	v_fma_f32 v47, -0.5, v119, v31
	v_dual_fmac_f32 v15, 0x3e9e377a, v60 :: v_dual_fmac_f32 v44, 0x3e9e377a, v67
	v_dual_fmac_f32 v13, 0x3e9e377a, v60 :: v_dual_fmac_f32 v38, 0x3e9e377a, v67
	v_dual_add_f32 v50, v105, v19 :: v_dual_fmac_f32 v43, 0x3f167918, v125
	s_waitcnt vmcnt(3)
	v_dual_mul_f32 v60, v30, v76 :: v_dual_fmac_f32 v37, 0xbf167918, v125
	v_dual_fmac_f32 v52, 0xbf167918, v90 :: v_dual_add_f32 v19, v91, v51
	v_fmac_f32_e32 v46, 0x3f167918, v90
	v_fmac_f32_e32 v33, 0x3e9e377a, v68
	;; [unrolled: 1-line block ×3, first 2 shown]
	v_dual_fmac_f32 v41, 0x3e9e377a, v69 :: v_dual_fmac_f32 v56, 0x3e9e377a, v59
	s_waitcnt vmcnt(2) lgkmcnt(1)
	v_dual_fmac_f32 v35, 0x3e9e377a, v69 :: v_dual_mul_f32 v68, v113, v78
	s_waitcnt lgkmcnt(0)
	v_dual_fmac_f32 v48, 0x3e9e377a, v59 :: v_dual_mul_f32 v69, v115, v80
	v_dual_sub_f32 v117, v63, v57 :: v_dual_fmac_f32 v34, 0x3e9e377a, v55
	v_dual_fmac_f32 v11, 0x3e9e377a, v55 :: v_dual_fmac_f32 v52, 0x3e9e377a, v58
	v_dual_add_f32 v49, v32, v49 :: v_dual_fmac_f32 v46, 0x3e9e377a, v58
	v_fmamk_f32 v55, v102, 0x3f737871, v47
	v_fma_f32 v60, v75, v109, -v60
	v_fmac_f32_e32 v68, v28, v77
	v_add_f32_e32 v32, v104, v19
	v_add_f32_e32 v19, v31, v63
	v_fmac_f32_e32 v69, v26, v79
	v_fmac_f32_e32 v47, 0xbf737871, v102
	v_fma_f32 v45, -0.5, v107, v31
	v_add_f32_e32 v31, v117, v118
	v_fmac_f32_e32 v55, 0x3f167918, v116
	v_add_f32_e32 v19, v57, v19
	ds_load_2addr_b32 v[57:58], v85 offset1:125
	v_fmac_f32_e32 v47, 0xbf167918, v116
	v_mul_f32_e32 v67, v109, v76
	v_fmac_f32_e32 v55, 0x3e9e377a, v31
	s_delay_alu instid0(VALU_DEP_2) | instskip(NEXT) | instid1(VALU_DEP_4)
	v_fmac_f32_e32 v67, v30, v75
	v_fmac_f32_e32 v47, 0x3e9e377a, v31
	v_dual_mul_f32 v31, v26, v80 :: v_dual_mul_f32 v30, v111, v74
	s_delay_alu instid0(VALU_DEP_1)
	v_fma_f32 v64, v79, v115, -v31
	v_fmamk_f32 v51, v116, 0xbf737871, v45
	v_fmac_f32_e32 v45, 0x3f737871, v116
	v_mul_f32_e32 v59, v24, v74
	v_fmac_f32_e32 v30, v24, v73
	v_mul_f32_e32 v31, v28, v78
	v_fmac_f32_e32 v51, 0x3f167918, v102
	s_waitcnt vmcnt(0)
	v_dual_fmac_f32 v45, 0xbf167918, v102 :: v_dual_mul_f32 v74, v114, v89
	v_sub_f32_e32 v72, v30, v69
	v_fma_f32 v70, v77, v113, -v31
	v_fmac_f32_e32 v51, 0x3e9e377a, v62
	s_delay_alu instid0(VALU_DEP_4) | instskip(SKIP_3) | instid1(VALU_DEP_3)
	v_fmac_f32_e32 v45, 0x3e9e377a, v62
	v_fma_f32 v62, v73, v111, -v59
	v_fmac_f32_e32 v43, 0x3e9e377a, v71
	v_dual_fmac_f32 v37, 0x3e9e377a, v71 :: v_dual_sub_f32 v26, v70, v64
	v_dual_add_f32 v19, v19, v61 :: v_dual_add_f32 v28, v62, v64
	v_sub_f32_e32 v24, v60, v62
	s_delay_alu instid0(VALU_DEP_2) | instskip(SKIP_1) | instid1(VALU_DEP_3)
	v_dual_fmac_f32 v74, v25, v88 :: v_dual_add_f32 v31, v19, v66
	s_waitcnt lgkmcnt(0)
	v_fma_f32 v59, -0.5, v28, v58
	v_add_f32_e32 v28, v60, v70
	v_dual_add_f32 v19, v24, v26 :: v_dual_sub_f32 v24, v62, v60
	v_sub_f32_e32 v26, v64, v70
	v_sub_f32_e32 v66, v60, v70
	s_delay_alu instid0(VALU_DEP_4) | instskip(SKIP_1) | instid1(VALU_DEP_4)
	v_fma_f32 v63, -0.5, v28, v58
	v_dual_sub_f32 v71, v67, v68 :: v_dual_add_f32 v28, v62, v58
	v_add_f32_e32 v24, v24, v26
	s_delay_alu instid0(VALU_DEP_3) | instskip(SKIP_1) | instid1(VALU_DEP_4)
	v_fmamk_f32 v65, v72, 0xbf737871, v63
	v_fmac_f32_e32 v63, 0x3f737871, v72
	v_fmamk_f32 v61, v71, 0x3f737871, v59
	v_dual_fmac_f32 v59, 0xbf737871, v71 :: v_dual_add_f32 v26, v60, v28
	s_delay_alu instid0(VALU_DEP_4) | instskip(NEXT) | instid1(VALU_DEP_4)
	v_fmac_f32_e32 v65, 0xbf167918, v71
	v_fmac_f32_e32 v63, 0x3f167918, v71
	s_delay_alu instid0(VALU_DEP_4) | instskip(NEXT) | instid1(VALU_DEP_4)
	v_fmac_f32_e32 v61, 0xbf167918, v72
	v_dual_fmac_f32 v59, 0x3f167918, v72 :: v_dual_sub_f32 v28, v68, v69
	s_delay_alu instid0(VALU_DEP_4) | instskip(NEXT) | instid1(VALU_DEP_4)
	v_fmac_f32_e32 v65, 0x3e9e377a, v24
	v_dual_fmac_f32 v63, 0x3e9e377a, v24 :: v_dual_add_f32 v24, v70, v26
	v_sub_f32_e32 v26, v67, v30
	s_delay_alu instid0(VALU_DEP_2) | instskip(NEXT) | instid1(VALU_DEP_2)
	v_add_f32_e32 v24, v64, v24
	v_dual_add_f32 v26, v26, v28 :: v_dual_fmac_f32 v61, 0x3e9e377a, v19
	v_fmac_f32_e32 v59, 0x3e9e377a, v19
	v_add_f32_e32 v19, v30, v69
	v_sub_f32_e32 v28, v62, v64
	s_delay_alu instid0(VALU_DEP_2) | instskip(NEXT) | instid1(VALU_DEP_1)
	v_fma_f32 v58, -0.5, v19, v22
	v_dual_add_f32 v19, v67, v68 :: v_dual_fmamk_f32 v60, v66, 0xbf737871, v58
	s_delay_alu instid0(VALU_DEP_1) | instskip(SKIP_2) | instid1(VALU_DEP_4)
	v_fma_f32 v62, -0.5, v19, v22
	v_fmac_f32_e32 v58, 0x3f737871, v66
	v_add_f32_e32 v22, v22, v30
	v_fmac_f32_e32 v60, 0x3f167918, v28
	v_sub_f32_e32 v70, v69, v68
	v_dual_fmamk_f32 v64, v28, 0x3f737871, v62 :: v_dual_sub_f32 v19, v30, v67
	v_fmac_f32_e32 v58, 0xbf167918, v28
	v_add_f32_e32 v22, v67, v22
	v_fmac_f32_e32 v60, 0x3e9e377a, v26
	s_delay_alu instid0(VALU_DEP_4) | instskip(NEXT) | instid1(VALU_DEP_4)
	v_dual_fmac_f32 v62, 0xbf737871, v28 :: v_dual_add_f32 v19, v19, v70
	v_fmac_f32_e32 v58, 0x3e9e377a, v26
	v_mul_f32_e32 v26, v23, v82
	v_add_f32_e32 v22, v22, v68
	v_mul_f32_e32 v28, v25, v89
	v_mul_f32_e32 v68, v108, v84
	;; [unrolled: 1-line block ×3, first 2 shown]
	v_fmac_f32_e32 v64, 0x3f167918, v66
	v_fmac_f32_e32 v62, 0xbf167918, v66
	v_fma_f32 v66, v81, v110, -v26
	v_fma_f32 v71, v88, v114, -v28
	v_fmac_f32_e32 v68, v29, v83
	v_fmac_f32_e32 v70, v27, v86
	v_mul_f32_e32 v30, v29, v84
	v_mul_f32_e32 v26, v27, v87
	v_fmac_f32_e32 v62, 0x3e9e377a, v19
	s_delay_alu instid0(VALU_DEP_4) | instskip(SKIP_4) | instid1(VALU_DEP_4)
	v_dual_fmac_f32 v64, 0x3e9e377a, v19 :: v_dual_sub_f32 v75, v68, v70
	v_add_f32_e32 v27, v66, v71
	v_fma_f32 v72, v83, v108, -v30
	v_fma_f32 v29, v86, v112, -v26
	v_mul_f32_e32 v73, v110, v82
	v_fma_f32 v26, -0.5, v27, v57
	s_delay_alu instid0(VALU_DEP_4) | instskip(NEXT) | instid1(VALU_DEP_4)
	v_sub_f32_e32 v25, v72, v66
	v_dual_add_f32 v30, v72, v29 :: v_dual_sub_f32 v27, v29, v71
	s_delay_alu instid0(VALU_DEP_3) | instskip(SKIP_2) | instid1(VALU_DEP_4)
	v_fmamk_f32 v28, v75, 0x3f737871, v26
	v_fmac_f32_e32 v73, v23, v81
	v_add_f32_e32 v23, v22, v69
	v_fma_f32 v30, -0.5, v30, v57
	v_fmac_f32_e32 v26, 0xbf737871, v75
	v_sub_f32_e32 v22, v66, v72
	v_sub_f32_e32 v76, v73, v74
	v_add_f32_e32 v19, v25, v27
	v_add_f32_e32 v27, v66, v57
	s_delay_alu instid0(VALU_DEP_3) | instskip(SKIP_1) | instid1(VALU_DEP_2)
	v_dual_sub_f32 v57, v72, v29 :: v_dual_fmac_f32 v28, 0xbf167918, v76
	v_dual_fmac_f32 v26, 0x3f167918, v76 :: v_dual_sub_f32 v25, v71, v29
	v_fmac_f32_e32 v28, 0x3e9e377a, v19
	s_delay_alu instid0(VALU_DEP_2) | instskip(SKIP_1) | instid1(VALU_DEP_4)
	v_dual_fmamk_f32 v67, v76, 0xbf737871, v30 :: v_dual_add_f32 v22, v22, v25
	v_fmac_f32_e32 v30, 0x3f737871, v76
	v_fmac_f32_e32 v26, 0x3e9e377a, v19
	s_delay_alu instid0(VALU_DEP_3) | instskip(NEXT) | instid1(VALU_DEP_3)
	v_fmac_f32_e32 v67, 0xbf167918, v75
	v_fmac_f32_e32 v30, 0x3f167918, v75
	v_add_f32_e32 v25, v72, v27
	v_dual_add_f32 v27, v73, v74 :: v_dual_sub_f32 v72, v66, v71
	v_add_f32_e32 v66, v68, v70
	s_delay_alu instid0(VALU_DEP_3) | instskip(SKIP_3) | instid1(VALU_DEP_4)
	v_dual_fmac_f32 v30, 0x3e9e377a, v22 :: v_dual_add_f32 v19, v29, v25
	v_fmac_f32_e32 v67, 0x3e9e377a, v22
	v_sub_f32_e32 v69, v70, v74
	v_fma_f32 v25, -0.5, v27, v21
	v_dual_add_f32 v22, v71, v19 :: v_dual_sub_f32 v19, v73, v68
	v_sub_f32_e32 v71, v74, v70
	s_delay_alu instid0(VALU_DEP_3) | instskip(SKIP_1) | instid1(VALU_DEP_3)
	v_fmamk_f32 v27, v57, 0xbf737871, v25
	v_fmac_f32_e32 v25, 0x3f737871, v57
	v_add_f32_e32 v71, v19, v71
	v_sub_f32_e32 v29, v68, v73
	v_mov_b32_e32 v19, v20
	s_delay_alu instid0(VALU_DEP_4) | instskip(NEXT) | instid1(VALU_DEP_3)
	v_fmac_f32_e32 v25, 0xbf167918, v72
	v_add_f32_e32 v69, v29, v69
	v_fma_f32 v29, -0.5, v66, v21
	s_delay_alu instid0(VALU_DEP_4) | instskip(SKIP_1) | instid1(VALU_DEP_4)
	v_lshlrev_b64 v[18:19], 3, v[18:19]
	v_add_f32_e32 v21, v21, v73
	v_fmac_f32_e32 v25, 0x3e9e377a, v69
	s_delay_alu instid0(VALU_DEP_4) | instskip(SKIP_3) | instid1(VALU_DEP_4)
	v_fmamk_f32 v66, v72, 0x3f737871, v29
	v_fmac_f32_e32 v29, 0xbf737871, v72
	v_fmac_f32_e32 v27, 0x3f167918, v72
	v_add_f32_e32 v21, v68, v21
	v_fmac_f32_e32 v66, 0x3f167918, v57
	s_delay_alu instid0(VALU_DEP_4) | instskip(SKIP_3) | instid1(VALU_DEP_3)
	v_fmac_f32_e32 v29, 0xbf167918, v57
	v_add_co_u32 v57, vcc_lo, s8, v16
	v_add_co_ci_u32_e32 v78, vcc_lo, s9, v17, vcc_lo
	v_fmac_f32_e32 v27, 0x3e9e377a, v69
	v_add_co_u32 v16, vcc_lo, v57, v18
	s_delay_alu instid0(VALU_DEP_3) | instskip(SKIP_1) | instid1(VALU_DEP_3)
	v_add_co_ci_u32_e32 v17, vcc_lo, v78, v19, vcc_lo
	v_add_f32_e32 v21, v21, v70
	v_add_co_u32 v68, vcc_lo, 0x1000, v16
	s_delay_alu instid0(VALU_DEP_3)
	v_add_co_ci_u32_e32 v69, vcc_lo, 0, v17, vcc_lo
	v_add_co_u32 v70, vcc_lo, 0x2000, v16
	v_fmac_f32_e32 v66, 0x3e9e377a, v71
	v_fmac_f32_e32 v29, 0x3e9e377a, v71
	v_add_co_ci_u32_e32 v71, vcc_lo, 0, v17, vcc_lo
	v_add_co_u32 v18, vcc_lo, 0x4000, v16
	v_add_co_ci_u32_e32 v19, vcc_lo, 0, v17, vcc_lo
	v_add_co_u32 v72, vcc_lo, 0x5000, v16
	v_add_co_ci_u32_e32 v73, vcc_lo, 0, v17, vcc_lo
	v_add_f32_e32 v21, v21, v74
	v_add_co_u32 v74, vcc_lo, 0x3000, v16
	v_add_co_ci_u32_e32 v75, vcc_lo, 0, v17, vcc_lo
	s_clause 0x5
	global_store_b64 v[74:75], v[58:59], off offset:712
	global_store_b64 v[74:75], v[45:46], off offset:1712
	;; [unrolled: 1-line block ×6, first 2 shown]
	v_lshrrev_b32_e32 v18, 4, v53
	v_add_co_u32 v76, vcc_lo, 0x6000, v16
	v_add_co_ci_u32_e32 v77, vcc_lo, 0, v17, vcc_lo
	s_delay_alu instid0(VALU_DEP_3)
	v_mul_u32_u24_e32 v19, 0xbb8, v18
	s_clause 0xd
	global_store_b64 v[16:17], v[21:22], off
	global_store_b64 v[16:17], v[23:24], off offset:1000
	global_store_b64 v[16:17], v[31:32], off offset:2000
	;; [unrolled: 1-line block ×13, first 2 shown]
	v_lshlrev_b64 v[18:19], 3, v[19:20]
	s_delay_alu instid0(VALU_DEP_1) | instskip(SKIP_1) | instid1(VALU_DEP_3)
	v_add_co_u32 v16, vcc_lo, v16, v18
	v_mul_hi_u32 v18, 0x57619f1, v54
	v_add_co_ci_u32_e32 v17, vcc_lo, v17, v19, vcc_lo
	s_delay_alu instid0(VALU_DEP_3) | instskip(NEXT) | instid1(VALU_DEP_2)
	v_add_co_u32 v21, vcc_lo, 0x2000, v16
	v_add_co_ci_u32_e32 v22, vcc_lo, 0, v17, vcc_lo
	s_delay_alu instid0(VALU_DEP_4) | instskip(SKIP_2) | instid1(VALU_DEP_3)
	v_lshrrev_b32_e32 v18, 4, v18
	v_add_co_u32 v23, vcc_lo, 0x3000, v16
	v_add_co_ci_u32_e32 v24, vcc_lo, 0, v17, vcc_lo
	v_mad_u32_u24 v19, 0xbb8, v18, v54
	v_add_co_u32 v25, vcc_lo, 0x5000, v16
	v_add_co_ci_u32_e32 v26, vcc_lo, 0, v17, vcc_lo
	s_clause 0x3
	global_store_b64 v[16:17], v[39:40], off offset:4000
	global_store_b64 v[21:22], v[12:13], off offset:1808
	;; [unrolled: 1-line block ×4, first 2 shown]
	v_lshlrev_b64 v[10:11], 3, v[19:20]
	v_add_co_u32 v12, vcc_lo, 0x6000, v16
	v_add_co_ci_u32_e32 v13, vcc_lo, 0, v17, vcc_lo
	s_delay_alu instid0(VALU_DEP_3) | instskip(NEXT) | instid1(VALU_DEP_4)
	v_add_co_u32 v10, vcc_lo, v57, v10
	v_add_co_ci_u32_e32 v11, vcc_lo, v78, v11, vcc_lo
	global_store_b64 v[12:13], v[14:15], off offset:3424
	v_add_co_u32 v12, vcc_lo, 0x1000, v10
	v_add_co_ci_u32_e32 v13, vcc_lo, 0, v11, vcc_lo
	v_add_co_u32 v14, vcc_lo, 0x2000, v10
	v_add_co_ci_u32_e32 v15, vcc_lo, 0, v11, vcc_lo
	;; [unrolled: 2-line block ×4, first 2 shown]
	s_clause 0x4
	global_store_b64 v[10:11], v[8:9], off
	global_store_b64 v[12:13], v[2:3], off offset:1904
	global_store_b64 v[14:15], v[0:1], off offset:3808
	;; [unrolled: 1-line block ×4, first 2 shown]
.LBB0_13:
	s_nop 0
	s_sendmsg sendmsg(MSG_DEALLOC_VGPRS)
	s_endpgm
	.section	.rodata,"a",@progbits
	.p2align	6, 0x0
	.amdhsa_kernel fft_rtc_back_len3750_factors_3_5_5_10_5_wgs_125_tpt_125_halfLds_sp_ip_CI_unitstride_sbrr_dirReg
		.amdhsa_group_segment_fixed_size 0
		.amdhsa_private_segment_fixed_size 0
		.amdhsa_kernarg_size 88
		.amdhsa_user_sgpr_count 15
		.amdhsa_user_sgpr_dispatch_ptr 0
		.amdhsa_user_sgpr_queue_ptr 0
		.amdhsa_user_sgpr_kernarg_segment_ptr 1
		.amdhsa_user_sgpr_dispatch_id 0
		.amdhsa_user_sgpr_private_segment_size 0
		.amdhsa_wavefront_size32 1
		.amdhsa_uses_dynamic_stack 0
		.amdhsa_enable_private_segment 0
		.amdhsa_system_sgpr_workgroup_id_x 1
		.amdhsa_system_sgpr_workgroup_id_y 0
		.amdhsa_system_sgpr_workgroup_id_z 0
		.amdhsa_system_sgpr_workgroup_info 0
		.amdhsa_system_vgpr_workitem_id 0
		.amdhsa_next_free_vgpr 159
		.amdhsa_next_free_sgpr 21
		.amdhsa_reserve_vcc 1
		.amdhsa_float_round_mode_32 0
		.amdhsa_float_round_mode_16_64 0
		.amdhsa_float_denorm_mode_32 3
		.amdhsa_float_denorm_mode_16_64 3
		.amdhsa_dx10_clamp 1
		.amdhsa_ieee_mode 1
		.amdhsa_fp16_overflow 0
		.amdhsa_workgroup_processor_mode 1
		.amdhsa_memory_ordered 1
		.amdhsa_forward_progress 0
		.amdhsa_shared_vgpr_count 0
		.amdhsa_exception_fp_ieee_invalid_op 0
		.amdhsa_exception_fp_denorm_src 0
		.amdhsa_exception_fp_ieee_div_zero 0
		.amdhsa_exception_fp_ieee_overflow 0
		.amdhsa_exception_fp_ieee_underflow 0
		.amdhsa_exception_fp_ieee_inexact 0
		.amdhsa_exception_int_div_zero 0
	.end_amdhsa_kernel
	.text
.Lfunc_end0:
	.size	fft_rtc_back_len3750_factors_3_5_5_10_5_wgs_125_tpt_125_halfLds_sp_ip_CI_unitstride_sbrr_dirReg, .Lfunc_end0-fft_rtc_back_len3750_factors_3_5_5_10_5_wgs_125_tpt_125_halfLds_sp_ip_CI_unitstride_sbrr_dirReg
                                        ; -- End function
	.section	.AMDGPU.csdata,"",@progbits
; Kernel info:
; codeLenInByte = 19464
; NumSgprs: 23
; NumVgprs: 159
; ScratchSize: 0
; MemoryBound: 0
; FloatMode: 240
; IeeeMode: 1
; LDSByteSize: 0 bytes/workgroup (compile time only)
; SGPRBlocks: 2
; VGPRBlocks: 19
; NumSGPRsForWavesPerEU: 23
; NumVGPRsForWavesPerEU: 159
; Occupancy: 9
; WaveLimiterHint : 1
; COMPUTE_PGM_RSRC2:SCRATCH_EN: 0
; COMPUTE_PGM_RSRC2:USER_SGPR: 15
; COMPUTE_PGM_RSRC2:TRAP_HANDLER: 0
; COMPUTE_PGM_RSRC2:TGID_X_EN: 1
; COMPUTE_PGM_RSRC2:TGID_Y_EN: 0
; COMPUTE_PGM_RSRC2:TGID_Z_EN: 0
; COMPUTE_PGM_RSRC2:TIDIG_COMP_CNT: 0
	.text
	.p2alignl 7, 3214868480
	.fill 96, 4, 3214868480
	.type	__hip_cuid_90350540f22f1f03,@object ; @__hip_cuid_90350540f22f1f03
	.section	.bss,"aw",@nobits
	.globl	__hip_cuid_90350540f22f1f03
__hip_cuid_90350540f22f1f03:
	.byte	0                               ; 0x0
	.size	__hip_cuid_90350540f22f1f03, 1

	.ident	"AMD clang version 19.0.0git (https://github.com/RadeonOpenCompute/llvm-project roc-6.4.0 25133 c7fe45cf4b819c5991fe208aaa96edf142730f1d)"
	.section	".note.GNU-stack","",@progbits
	.addrsig
	.addrsig_sym __hip_cuid_90350540f22f1f03
	.amdgpu_metadata
---
amdhsa.kernels:
  - .args:
      - .actual_access:  read_only
        .address_space:  global
        .offset:         0
        .size:           8
        .value_kind:     global_buffer
      - .offset:         8
        .size:           8
        .value_kind:     by_value
      - .actual_access:  read_only
        .address_space:  global
        .offset:         16
        .size:           8
        .value_kind:     global_buffer
      - .actual_access:  read_only
        .address_space:  global
        .offset:         24
        .size:           8
        .value_kind:     global_buffer
      - .offset:         32
        .size:           8
        .value_kind:     by_value
      - .actual_access:  read_only
        .address_space:  global
        .offset:         40
        .size:           8
        .value_kind:     global_buffer
      - .actual_access:  read_only
        .address_space:  global
        .offset:         48
        .size:           8
        .value_kind:     global_buffer
      - .offset:         56
        .size:           4
        .value_kind:     by_value
      - .actual_access:  read_only
        .address_space:  global
        .offset:         64
        .size:           8
        .value_kind:     global_buffer
      - .actual_access:  read_only
        .address_space:  global
        .offset:         72
        .size:           8
        .value_kind:     global_buffer
      - .address_space:  global
        .offset:         80
        .size:           8
        .value_kind:     global_buffer
    .group_segment_fixed_size: 0
    .kernarg_segment_align: 8
    .kernarg_segment_size: 88
    .language:       OpenCL C
    .language_version:
      - 2
      - 0
    .max_flat_workgroup_size: 125
    .name:           fft_rtc_back_len3750_factors_3_5_5_10_5_wgs_125_tpt_125_halfLds_sp_ip_CI_unitstride_sbrr_dirReg
    .private_segment_fixed_size: 0
    .sgpr_count:     23
    .sgpr_spill_count: 0
    .symbol:         fft_rtc_back_len3750_factors_3_5_5_10_5_wgs_125_tpt_125_halfLds_sp_ip_CI_unitstride_sbrr_dirReg.kd
    .uniform_work_group_size: 1
    .uses_dynamic_stack: false
    .vgpr_count:     159
    .vgpr_spill_count: 0
    .wavefront_size: 32
    .workgroup_processor_mode: 1
amdhsa.target:   amdgcn-amd-amdhsa--gfx1100
amdhsa.version:
  - 1
  - 2
...

	.end_amdgpu_metadata
